;; amdgpu-corpus repo=ROCm/rocFFT kind=compiled arch=gfx1201 opt=O3
	.text
	.amdgcn_target "amdgcn-amd-amdhsa--gfx1201"
	.amdhsa_code_object_version 6
	.protected	fft_rtc_back_len924_factors_2_2_3_7_11_wgs_44_tpt_44_halfLds_half_ip_CI_unitstride_sbrr_C2R_dirReg ; -- Begin function fft_rtc_back_len924_factors_2_2_3_7_11_wgs_44_tpt_44_halfLds_half_ip_CI_unitstride_sbrr_C2R_dirReg
	.globl	fft_rtc_back_len924_factors_2_2_3_7_11_wgs_44_tpt_44_halfLds_half_ip_CI_unitstride_sbrr_C2R_dirReg
	.p2align	8
	.type	fft_rtc_back_len924_factors_2_2_3_7_11_wgs_44_tpt_44_halfLds_half_ip_CI_unitstride_sbrr_C2R_dirReg,@function
fft_rtc_back_len924_factors_2_2_3_7_11_wgs_44_tpt_44_halfLds_half_ip_CI_unitstride_sbrr_C2R_dirReg: ; @fft_rtc_back_len924_factors_2_2_3_7_11_wgs_44_tpt_44_halfLds_half_ip_CI_unitstride_sbrr_C2R_dirReg
; %bb.0:
	s_clause 0x2
	s_load_b128 s[4:7], s[0:1], 0x0
	s_load_b64 s[8:9], s[0:1], 0x50
	s_load_b64 s[10:11], s[0:1], 0x18
	v_mul_u32_u24_e32 v1, 0x5d2, v0
	v_mov_b32_e32 v3, 0
	s_delay_alu instid0(VALU_DEP_2) | instskip(NEXT) | instid1(VALU_DEP_1)
	v_lshrrev_b32_e32 v1, 16, v1
	v_add_nc_u32_e32 v5, ttmp9, v1
	v_mov_b32_e32 v1, 0
	v_mov_b32_e32 v2, 0
	;; [unrolled: 1-line block ×3, first 2 shown]
	s_wait_kmcnt 0x0
	v_cmp_lt_u64_e64 s2, s[6:7], 2
	s_delay_alu instid0(VALU_DEP_1)
	s_and_b32 vcc_lo, exec_lo, s2
	s_cbranch_vccnz .LBB0_8
; %bb.1:
	s_load_b64 s[2:3], s[0:1], 0x10
	v_mov_b32_e32 v1, 0
	v_mov_b32_e32 v2, 0
	s_add_nc_u64 s[12:13], s[10:11], 8
	s_mov_b64 s[14:15], 1
	s_wait_kmcnt 0x0
	s_add_nc_u64 s[16:17], s[2:3], 8
	s_mov_b32 s3, 0
.LBB0_2:                                ; =>This Inner Loop Header: Depth=1
	s_load_b64 s[18:19], s[16:17], 0x0
                                        ; implicit-def: $vgpr7_vgpr8
	s_mov_b32 s2, exec_lo
	s_wait_kmcnt 0x0
	v_or_b32_e32 v4, s19, v6
	s_delay_alu instid0(VALU_DEP_1)
	v_cmpx_ne_u64_e32 0, v[3:4]
	s_wait_alu 0xfffe
	s_xor_b32 s20, exec_lo, s2
	s_cbranch_execz .LBB0_4
; %bb.3:                                ;   in Loop: Header=BB0_2 Depth=1
	s_cvt_f32_u32 s2, s18
	s_cvt_f32_u32 s21, s19
	s_sub_nc_u64 s[24:25], 0, s[18:19]
	s_wait_alu 0xfffe
	s_delay_alu instid0(SALU_CYCLE_1) | instskip(SKIP_1) | instid1(SALU_CYCLE_2)
	s_fmamk_f32 s2, s21, 0x4f800000, s2
	s_wait_alu 0xfffe
	v_s_rcp_f32 s2, s2
	s_delay_alu instid0(TRANS32_DEP_1) | instskip(SKIP_1) | instid1(SALU_CYCLE_2)
	s_mul_f32 s2, s2, 0x5f7ffffc
	s_wait_alu 0xfffe
	s_mul_f32 s21, s2, 0x2f800000
	s_wait_alu 0xfffe
	s_delay_alu instid0(SALU_CYCLE_2) | instskip(SKIP_1) | instid1(SALU_CYCLE_2)
	s_trunc_f32 s21, s21
	s_wait_alu 0xfffe
	s_fmamk_f32 s2, s21, 0xcf800000, s2
	s_cvt_u32_f32 s23, s21
	s_wait_alu 0xfffe
	s_delay_alu instid0(SALU_CYCLE_1) | instskip(SKIP_1) | instid1(SALU_CYCLE_2)
	s_cvt_u32_f32 s22, s2
	s_wait_alu 0xfffe
	s_mul_u64 s[26:27], s[24:25], s[22:23]
	s_wait_alu 0xfffe
	s_mul_hi_u32 s29, s22, s27
	s_mul_i32 s28, s22, s27
	s_mul_hi_u32 s2, s22, s26
	s_mul_i32 s30, s23, s26
	s_wait_alu 0xfffe
	s_add_nc_u64 s[28:29], s[2:3], s[28:29]
	s_mul_hi_u32 s21, s23, s26
	s_mul_hi_u32 s31, s23, s27
	s_add_co_u32 s2, s28, s30
	s_wait_alu 0xfffe
	s_add_co_ci_u32 s2, s29, s21
	s_mul_i32 s26, s23, s27
	s_add_co_ci_u32 s27, s31, 0
	s_wait_alu 0xfffe
	s_add_nc_u64 s[26:27], s[2:3], s[26:27]
	s_wait_alu 0xfffe
	v_add_co_u32 v4, s2, s22, s26
	s_delay_alu instid0(VALU_DEP_1) | instskip(SKIP_1) | instid1(VALU_DEP_1)
	s_cmp_lg_u32 s2, 0
	s_add_co_ci_u32 s23, s23, s27
	v_readfirstlane_b32 s22, v4
	s_wait_alu 0xfffe
	s_delay_alu instid0(VALU_DEP_1)
	s_mul_u64 s[24:25], s[24:25], s[22:23]
	s_wait_alu 0xfffe
	s_mul_hi_u32 s27, s22, s25
	s_mul_i32 s26, s22, s25
	s_mul_hi_u32 s2, s22, s24
	s_mul_i32 s28, s23, s24
	s_wait_alu 0xfffe
	s_add_nc_u64 s[26:27], s[2:3], s[26:27]
	s_mul_hi_u32 s21, s23, s24
	s_mul_hi_u32 s22, s23, s25
	s_wait_alu 0xfffe
	s_add_co_u32 s2, s26, s28
	s_add_co_ci_u32 s2, s27, s21
	s_mul_i32 s24, s23, s25
	s_add_co_ci_u32 s25, s22, 0
	s_wait_alu 0xfffe
	s_add_nc_u64 s[24:25], s[2:3], s[24:25]
	s_wait_alu 0xfffe
	v_add_co_u32 v4, s2, v4, s24
	s_delay_alu instid0(VALU_DEP_1) | instskip(SKIP_1) | instid1(VALU_DEP_1)
	s_cmp_lg_u32 s2, 0
	s_add_co_ci_u32 s2, s23, s25
	v_mul_hi_u32 v13, v5, v4
	s_wait_alu 0xfffe
	v_mad_co_u64_u32 v[7:8], null, v5, s2, 0
	v_mad_co_u64_u32 v[9:10], null, v6, v4, 0
	;; [unrolled: 1-line block ×3, first 2 shown]
	s_delay_alu instid0(VALU_DEP_3) | instskip(SKIP_1) | instid1(VALU_DEP_4)
	v_add_co_u32 v4, vcc_lo, v13, v7
	s_wait_alu 0xfffd
	v_add_co_ci_u32_e32 v7, vcc_lo, 0, v8, vcc_lo
	s_delay_alu instid0(VALU_DEP_2) | instskip(SKIP_1) | instid1(VALU_DEP_2)
	v_add_co_u32 v4, vcc_lo, v4, v9
	s_wait_alu 0xfffd
	v_add_co_ci_u32_e32 v4, vcc_lo, v7, v10, vcc_lo
	s_wait_alu 0xfffd
	v_add_co_ci_u32_e32 v7, vcc_lo, 0, v12, vcc_lo
	s_delay_alu instid0(VALU_DEP_2) | instskip(SKIP_1) | instid1(VALU_DEP_2)
	v_add_co_u32 v4, vcc_lo, v4, v11
	s_wait_alu 0xfffd
	v_add_co_ci_u32_e32 v9, vcc_lo, 0, v7, vcc_lo
	s_delay_alu instid0(VALU_DEP_2) | instskip(SKIP_1) | instid1(VALU_DEP_3)
	v_mul_lo_u32 v10, s19, v4
	v_mad_co_u64_u32 v[7:8], null, s18, v4, 0
	v_mul_lo_u32 v11, s18, v9
	s_delay_alu instid0(VALU_DEP_2) | instskip(NEXT) | instid1(VALU_DEP_2)
	v_sub_co_u32 v7, vcc_lo, v5, v7
	v_add3_u32 v8, v8, v11, v10
	s_delay_alu instid0(VALU_DEP_1) | instskip(SKIP_1) | instid1(VALU_DEP_1)
	v_sub_nc_u32_e32 v10, v6, v8
	s_wait_alu 0xfffd
	v_subrev_co_ci_u32_e64 v10, s2, s19, v10, vcc_lo
	v_add_co_u32 v11, s2, v4, 2
	s_wait_alu 0xf1ff
	v_add_co_ci_u32_e64 v12, s2, 0, v9, s2
	v_sub_co_u32 v13, s2, v7, s18
	v_sub_co_ci_u32_e32 v8, vcc_lo, v6, v8, vcc_lo
	s_wait_alu 0xf1ff
	v_subrev_co_ci_u32_e64 v10, s2, 0, v10, s2
	s_delay_alu instid0(VALU_DEP_3) | instskip(NEXT) | instid1(VALU_DEP_3)
	v_cmp_le_u32_e32 vcc_lo, s18, v13
	v_cmp_eq_u32_e64 s2, s19, v8
	s_wait_alu 0xfffd
	v_cndmask_b32_e64 v13, 0, -1, vcc_lo
	v_cmp_le_u32_e32 vcc_lo, s19, v10
	s_wait_alu 0xfffd
	v_cndmask_b32_e64 v14, 0, -1, vcc_lo
	v_cmp_le_u32_e32 vcc_lo, s18, v7
	;; [unrolled: 3-line block ×3, first 2 shown]
	s_wait_alu 0xfffd
	v_cndmask_b32_e64 v15, 0, -1, vcc_lo
	v_cmp_eq_u32_e32 vcc_lo, s19, v10
	s_wait_alu 0xf1ff
	s_delay_alu instid0(VALU_DEP_2)
	v_cndmask_b32_e64 v7, v15, v7, s2
	s_wait_alu 0xfffd
	v_cndmask_b32_e32 v10, v14, v13, vcc_lo
	v_add_co_u32 v13, vcc_lo, v4, 1
	s_wait_alu 0xfffd
	v_add_co_ci_u32_e32 v14, vcc_lo, 0, v9, vcc_lo
	s_delay_alu instid0(VALU_DEP_3) | instskip(SKIP_2) | instid1(VALU_DEP_3)
	v_cmp_ne_u32_e32 vcc_lo, 0, v10
	s_wait_alu 0xfffd
	v_cndmask_b32_e32 v10, v13, v11, vcc_lo
	v_cndmask_b32_e32 v8, v14, v12, vcc_lo
	v_cmp_ne_u32_e32 vcc_lo, 0, v7
	s_wait_alu 0xfffd
	s_delay_alu instid0(VALU_DEP_2)
	v_dual_cndmask_b32 v7, v4, v10 :: v_dual_cndmask_b32 v8, v9, v8
.LBB0_4:                                ;   in Loop: Header=BB0_2 Depth=1
	s_wait_alu 0xfffe
	s_and_not1_saveexec_b32 s2, s20
	s_cbranch_execz .LBB0_6
; %bb.5:                                ;   in Loop: Header=BB0_2 Depth=1
	v_cvt_f32_u32_e32 v4, s18
	s_sub_co_i32 s20, 0, s18
	s_delay_alu instid0(VALU_DEP_1) | instskip(NEXT) | instid1(TRANS32_DEP_1)
	v_rcp_iflag_f32_e32 v4, v4
	v_mul_f32_e32 v4, 0x4f7ffffe, v4
	s_delay_alu instid0(VALU_DEP_1) | instskip(SKIP_1) | instid1(VALU_DEP_1)
	v_cvt_u32_f32_e32 v4, v4
	s_wait_alu 0xfffe
	v_mul_lo_u32 v7, s20, v4
	s_delay_alu instid0(VALU_DEP_1) | instskip(NEXT) | instid1(VALU_DEP_1)
	v_mul_hi_u32 v7, v4, v7
	v_add_nc_u32_e32 v4, v4, v7
	s_delay_alu instid0(VALU_DEP_1) | instskip(NEXT) | instid1(VALU_DEP_1)
	v_mul_hi_u32 v4, v5, v4
	v_mul_lo_u32 v7, v4, s18
	v_add_nc_u32_e32 v8, 1, v4
	s_delay_alu instid0(VALU_DEP_2) | instskip(NEXT) | instid1(VALU_DEP_1)
	v_sub_nc_u32_e32 v7, v5, v7
	v_subrev_nc_u32_e32 v9, s18, v7
	v_cmp_le_u32_e32 vcc_lo, s18, v7
	s_wait_alu 0xfffd
	s_delay_alu instid0(VALU_DEP_2) | instskip(NEXT) | instid1(VALU_DEP_1)
	v_dual_cndmask_b32 v7, v7, v9 :: v_dual_cndmask_b32 v4, v4, v8
	v_cmp_le_u32_e32 vcc_lo, s18, v7
	s_delay_alu instid0(VALU_DEP_2) | instskip(SKIP_1) | instid1(VALU_DEP_1)
	v_add_nc_u32_e32 v8, 1, v4
	s_wait_alu 0xfffd
	v_dual_cndmask_b32 v7, v4, v8 :: v_dual_mov_b32 v8, v3
.LBB0_6:                                ;   in Loop: Header=BB0_2 Depth=1
	s_wait_alu 0xfffe
	s_or_b32 exec_lo, exec_lo, s2
	s_load_b64 s[20:21], s[12:13], 0x0
	s_delay_alu instid0(VALU_DEP_1)
	v_mul_lo_u32 v4, v8, s18
	v_mul_lo_u32 v11, v7, s19
	v_mad_co_u64_u32 v[9:10], null, v7, s18, 0
	s_add_nc_u64 s[14:15], s[14:15], 1
	s_add_nc_u64 s[12:13], s[12:13], 8
	s_wait_alu 0xfffe
	v_cmp_ge_u64_e64 s2, s[14:15], s[6:7]
	s_add_nc_u64 s[16:17], s[16:17], 8
	s_delay_alu instid0(VALU_DEP_2) | instskip(NEXT) | instid1(VALU_DEP_3)
	v_add3_u32 v4, v10, v11, v4
	v_sub_co_u32 v5, vcc_lo, v5, v9
	s_wait_alu 0xfffd
	s_delay_alu instid0(VALU_DEP_2) | instskip(SKIP_3) | instid1(VALU_DEP_2)
	v_sub_co_ci_u32_e32 v4, vcc_lo, v6, v4, vcc_lo
	s_and_b32 vcc_lo, exec_lo, s2
	s_wait_kmcnt 0x0
	v_mul_lo_u32 v6, s21, v5
	v_mul_lo_u32 v4, s20, v4
	v_mad_co_u64_u32 v[1:2], null, s20, v5, v[1:2]
	s_delay_alu instid0(VALU_DEP_1)
	v_add3_u32 v2, v6, v2, v4
	s_wait_alu 0xfffe
	s_cbranch_vccnz .LBB0_9
; %bb.7:                                ;   in Loop: Header=BB0_2 Depth=1
	v_dual_mov_b32 v5, v7 :: v_dual_mov_b32 v6, v8
	s_branch .LBB0_2
.LBB0_8:
	v_dual_mov_b32 v8, v6 :: v_dual_mov_b32 v7, v5
.LBB0_9:
	s_lshl_b64 s[2:3], s[6:7], 3
	v_mul_hi_u32 v5, 0x5d1745e, v0
	s_wait_alu 0xfffe
	s_add_nc_u64 s[2:3], s[10:11], s[2:3]
	s_load_b64 s[2:3], s[2:3], 0x0
	s_load_b64 s[0:1], s[0:1], 0x20
	s_wait_kmcnt 0x0
	v_mul_lo_u32 v3, s2, v8
	v_mul_lo_u32 v4, s3, v7
	v_mad_co_u64_u32 v[1:2], null, s2, v7, v[1:2]
	v_cmp_gt_u64_e32 vcc_lo, s[0:1], v[7:8]
	s_delay_alu instid0(VALU_DEP_2) | instskip(SKIP_1) | instid1(VALU_DEP_2)
	v_add3_u32 v2, v4, v2, v3
	v_mul_u32_u24_e32 v3, 44, v5
	v_lshlrev_b64_e32 v[10:11], 2, v[1:2]
	s_delay_alu instid0(VALU_DEP_2)
	v_sub_nc_u32_e32 v8, v0, v3
	s_and_saveexec_b32 s1, vcc_lo
	s_cbranch_execz .LBB0_13
; %bb.10:
	v_mov_b32_e32 v9, 0
	s_delay_alu instid0(VALU_DEP_3) | instskip(SKIP_2) | instid1(VALU_DEP_3)
	v_add_co_u32 v0, s0, s8, v10
	s_wait_alu 0xf1ff
	v_add_co_ci_u32_e64 v1, s0, s9, v11, s0
	v_lshlrev_b64_e32 v[2:3], 2, v[8:9]
	s_mov_b32 s2, exec_lo
	s_delay_alu instid0(VALU_DEP_1) | instskip(SKIP_1) | instid1(VALU_DEP_2)
	v_add_co_u32 v2, s0, v0, v2
	s_wait_alu 0xf1ff
	v_add_co_ci_u32_e64 v3, s0, v1, v3, s0
	s_clause 0x14
	global_load_b32 v4, v[2:3], off
	global_load_b32 v5, v[2:3], off offset:176
	global_load_b32 v6, v[2:3], off offset:352
	;; [unrolled: 1-line block ×20, first 2 shown]
	v_lshl_add_u32 v3, v8, 2, 0
	s_delay_alu instid0(VALU_DEP_1)
	v_add_nc_u32_e32 v28, 0x400, v3
	v_add_nc_u32_e32 v29, 0x800, v3
	v_add_nc_u32_e32 v30, 0xc00, v3
	s_wait_loadcnt 0x13
	ds_store_2addr_b32 v3, v4, v5 offset1:44
	s_wait_loadcnt 0x11
	ds_store_2addr_b32 v3, v6, v7 offset0:88 offset1:132
	s_wait_loadcnt 0xf
	ds_store_2addr_b32 v3, v12, v13 offset0:176 offset1:220
	;; [unrolled: 2-line block ×9, first 2 shown]
	s_wait_loadcnt 0x0
	ds_store_b32 v3, v2 offset:3520
	v_cmpx_eq_u32_e32 43, v8
	s_cbranch_execz .LBB0_12
; %bb.11:
	global_load_b32 v0, v[0:1], off offset:3696
	v_mov_b32_e32 v8, 43
	s_wait_loadcnt 0x0
	ds_store_b32 v9, v0 offset:3696
.LBB0_12:
	s_wait_alu 0xfffe
	s_or_b32 exec_lo, exec_lo, s2
.LBB0_13:
	s_wait_alu 0xfffe
	s_or_b32 exec_lo, exec_lo, s1
	v_lshlrev_b32_e32 v0, 2, v8
	global_wb scope:SCOPE_SE
	s_wait_dscnt 0x0
	s_barrier_signal -1
	s_barrier_wait -1
	global_inv scope:SCOPE_SE
	v_add_nc_u32_e32 v34, 0, v0
	v_sub_nc_u32_e32 v2, 0, v0
	s_mov_b32 s1, exec_lo
                                        ; implicit-def: $vgpr0_vgpr1
	ds_load_u16 v5, v34
	ds_load_u16 v6, v2 offset:3696
	s_wait_dscnt 0x0
	v_add_f16_e32 v4, v6, v5
	v_sub_f16_e32 v3, v5, v6
	v_cmpx_ne_u32_e32 0, v8
	s_wait_alu 0xfffe
	s_xor_b32 s1, exec_lo, s1
	s_cbranch_execz .LBB0_15
; %bb.14:
	v_mov_b32_e32 v9, 0
	v_add_f16_e32 v4, v6, v5
	v_sub_f16_e32 v5, v5, v6
	s_delay_alu instid0(VALU_DEP_3) | instskip(NEXT) | instid1(VALU_DEP_1)
	v_lshlrev_b64_e32 v[0:1], 2, v[8:9]
	v_add_co_u32 v0, s0, s4, v0
	s_wait_alu 0xf1ff
	s_delay_alu instid0(VALU_DEP_2)
	v_add_co_ci_u32_e64 v1, s0, s5, v1, s0
	global_load_b32 v0, v[0:1], off offset:3688
	ds_load_u16 v1, v2 offset:3698
	ds_load_u16 v3, v34 offset:2
	s_wait_dscnt 0x0
	v_add_f16_e32 v6, v1, v3
	v_sub_f16_e32 v1, v3, v1
	s_wait_loadcnt 0x0
	v_lshrrev_b32_e32 v7, 16, v0
	s_delay_alu instid0(VALU_DEP_1) | instskip(NEXT) | instid1(VALU_DEP_3)
	v_fma_f16 v12, -v5, v7, v4
	v_fma_f16 v13, v6, v7, -v1
	v_fma_f16 v3, v6, v7, v1
	v_fma_f16 v4, v5, v7, v4
	s_delay_alu instid0(VALU_DEP_4) | instskip(NEXT) | instid1(VALU_DEP_4)
	v_fmac_f16_e32 v12, v0, v6
	v_fmac_f16_e32 v13, v5, v0
	s_delay_alu instid0(VALU_DEP_4) | instskip(NEXT) | instid1(VALU_DEP_4)
	v_fmac_f16_e32 v3, v5, v0
	v_fma_f16 v4, -v0, v6, v4
	v_dual_mov_b32 v0, v8 :: v_dual_mov_b32 v1, v9
	s_delay_alu instid0(VALU_DEP_4)
	v_pack_b32_f16 v5, v12, v13
	ds_store_b32 v2, v5 offset:3696
.LBB0_15:
	s_wait_alu 0xfffe
	s_and_not1_saveexec_b32 s0, s1
	s_cbranch_execz .LBB0_17
; %bb.16:
	v_mov_b32_e32 v5, 0
	ds_load_b32 v0, v5 offset:1848
	s_wait_dscnt 0x0
	v_pk_mul_f16 v6, 0xc0004000, v0
	v_mov_b32_e32 v0, 0
	v_mov_b32_e32 v1, 0
	ds_store_b32 v5, v6 offset:1848
.LBB0_17:
	s_wait_alu 0xfffe
	s_or_b32 exec_lo, exec_lo, s0
	v_lshlrev_b64_e32 v[0:1], 2, v[0:1]
	s_add_nc_u64 s[0:1], s[4:5], 0xe68
	v_perm_b32 v3, v3, v4, 0x5040100
	s_wait_alu 0xfffe
	s_delay_alu instid0(VALU_DEP_2)
	v_add_co_u32 v0, s0, s0, v0
	s_wait_alu 0xf1ff
	v_add_co_ci_u32_e64 v1, s0, s1, v1, s0
	v_cmp_gt_u32_e64 s0, 22, v8
	s_clause 0x5
	global_load_b32 v5, v[0:1], off offset:176
	global_load_b32 v6, v[0:1], off offset:352
	;; [unrolled: 1-line block ×6, first 2 shown]
	ds_store_b32 v34, v3
	global_load_b32 v3, v[0:1], off offset:1232
	ds_load_b32 v4, v34 offset:176
	ds_load_b32 v14, v2 offset:3520
	global_load_b32 v17, v[0:1], off offset:1408
	s_wait_dscnt 0x1
	v_lshrrev_b32_e32 v15, 16, v4
	s_wait_dscnt 0x0
	v_lshrrev_b32_e32 v16, 16, v14
	v_add_f16_e32 v18, v4, v14
	v_sub_f16_e32 v4, v4, v14
	s_delay_alu instid0(VALU_DEP_3) | instskip(SKIP_3) | instid1(VALU_DEP_1)
	v_add_f16_e32 v14, v16, v15
	v_sub_f16_e32 v15, v15, v16
	s_wait_loadcnt 0x7
	v_lshrrev_b32_e32 v19, 16, v5
	v_fma_f16 v16, v4, v19, v18
	s_delay_alu instid0(VALU_DEP_3) | instskip(SKIP_2) | instid1(VALU_DEP_4)
	v_fma_f16 v20, v14, v19, v15
	v_fma_f16 v18, -v4, v19, v18
	v_fma_f16 v15, v14, v19, -v15
	v_fma_f16 v16, -v5, v14, v16
	s_delay_alu instid0(VALU_DEP_4) | instskip(NEXT) | instid1(VALU_DEP_4)
	v_fmac_f16_e32 v20, v4, v5
	v_fmac_f16_e32 v18, v5, v14
	s_delay_alu instid0(VALU_DEP_4) | instskip(NEXT) | instid1(VALU_DEP_3)
	v_fmac_f16_e32 v15, v4, v5
	v_pack_b32_f16 v4, v16, v20
	s_wait_loadcnt 0x6
	v_lshrrev_b32_e32 v16, 16, v6
	s_delay_alu instid0(VALU_DEP_3)
	v_pack_b32_f16 v5, v18, v15
	ds_store_b32 v34, v4 offset:176
	ds_store_b32 v2, v5 offset:3520
	ds_load_b32 v4, v34 offset:352
	ds_load_b32 v5, v2 offset:3344
	s_wait_dscnt 0x1
	v_lshrrev_b32_e32 v14, 16, v4
	s_wait_dscnt 0x0
	v_lshrrev_b32_e32 v15, 16, v5
	v_add_f16_e32 v18, v4, v5
	v_sub_f16_e32 v4, v4, v5
	s_delay_alu instid0(VALU_DEP_3) | instskip(SKIP_1) | instid1(VALU_DEP_3)
	v_add_f16_e32 v5, v15, v14
	v_sub_f16_e32 v14, v14, v15
	v_fma_f16 v15, v4, v16, v18
	v_fma_f16 v18, -v4, v16, v18
	s_delay_alu instid0(VALU_DEP_3) | instskip(SKIP_1) | instid1(VALU_DEP_4)
	v_fma_f16 v19, v5, v16, v14
	v_fma_f16 v14, v5, v16, -v14
	v_fma_f16 v15, -v6, v5, v15
	s_delay_alu instid0(VALU_DEP_4)
	v_fmac_f16_e32 v18, v6, v5
	s_wait_loadcnt 0x5
	v_lshrrev_b32_e32 v16, 16, v7
	v_fmac_f16_e32 v19, v4, v6
	v_fmac_f16_e32 v14, v4, v6
	global_load_b32 v6, v[0:1], off offset:1584
	v_pack_b32_f16 v4, v15, v19
	v_pack_b32_f16 v5, v18, v14
	ds_store_b32 v34, v4 offset:352
	ds_store_b32 v2, v5 offset:3344
	ds_load_b32 v4, v34 offset:528
	ds_load_b32 v5, v2 offset:3168
	s_wait_dscnt 0x1
	v_lshrrev_b32_e32 v14, 16, v4
	s_wait_dscnt 0x0
	v_lshrrev_b32_e32 v15, 16, v5
	v_add_f16_e32 v18, v4, v5
	v_sub_f16_e32 v4, v4, v5
	s_delay_alu instid0(VALU_DEP_3) | instskip(SKIP_1) | instid1(VALU_DEP_3)
	v_add_f16_e32 v5, v15, v14
	v_sub_f16_e32 v14, v14, v15
	v_fma_f16 v15, v4, v16, v18
	v_fma_f16 v18, -v4, v16, v18
	s_delay_alu instid0(VALU_DEP_3) | instskip(SKIP_1) | instid1(VALU_DEP_4)
	v_fma_f16 v19, v5, v16, v14
	v_fma_f16 v14, v5, v16, -v14
	v_fma_f16 v15, -v7, v5, v15
	s_delay_alu instid0(VALU_DEP_4) | instskip(NEXT) | instid1(VALU_DEP_4)
	v_fmac_f16_e32 v18, v7, v5
	v_fmac_f16_e32 v19, v4, v7
	s_delay_alu instid0(VALU_DEP_4) | instskip(NEXT) | instid1(VALU_DEP_2)
	v_fmac_f16_e32 v14, v4, v7
	v_pack_b32_f16 v4, v15, v19
	s_delay_alu instid0(VALU_DEP_2)
	v_pack_b32_f16 v5, v18, v14
	ds_store_b32 v34, v4 offset:528
	ds_store_b32 v2, v5 offset:3168
	ds_load_b32 v4, v34 offset:704
	ds_load_b32 v5, v2 offset:2992
	s_wait_loadcnt 0x5
	v_lshrrev_b32_e32 v15, 16, v9
	s_wait_dscnt 0x1
	v_lshrrev_b32_e32 v7, 16, v4
	s_wait_dscnt 0x0
	v_lshrrev_b32_e32 v14, 16, v5
	v_add_f16_e32 v16, v4, v5
	v_sub_f16_e32 v4, v4, v5
	s_delay_alu instid0(VALU_DEP_3) | instskip(SKIP_1) | instid1(VALU_DEP_3)
	v_add_f16_e32 v5, v14, v7
	v_sub_f16_e32 v7, v7, v14
	v_fma_f16 v14, v4, v15, v16
	v_fma_f16 v16, -v4, v15, v16
	s_delay_alu instid0(VALU_DEP_3) | instskip(SKIP_1) | instid1(VALU_DEP_4)
	v_fma_f16 v18, v5, v15, v7
	v_fma_f16 v7, v5, v15, -v7
	v_fma_f16 v14, -v9, v5, v14
	s_delay_alu instid0(VALU_DEP_4) | instskip(NEXT) | instid1(VALU_DEP_4)
	v_fmac_f16_e32 v16, v9, v5
	v_fmac_f16_e32 v18, v4, v9
	s_delay_alu instid0(VALU_DEP_4) | instskip(NEXT) | instid1(VALU_DEP_2)
	v_fmac_f16_e32 v7, v4, v9
	v_pack_b32_f16 v4, v14, v18
	s_delay_alu instid0(VALU_DEP_2)
	v_pack_b32_f16 v5, v16, v7
	ds_store_b32 v34, v4 offset:704
	ds_store_b32 v2, v5 offset:2992
	ds_load_b32 v4, v34 offset:880
	ds_load_b32 v5, v2 offset:2816
	s_wait_loadcnt 0x4
	v_lshrrev_b32_e32 v14, 16, v12
	s_wait_dscnt 0x1
	v_lshrrev_b32_e32 v7, 16, v4
	s_wait_dscnt 0x0
	v_lshrrev_b32_e32 v9, 16, v5
	v_add_f16_e32 v15, v4, v5
	v_sub_f16_e32 v4, v4, v5
	s_delay_alu instid0(VALU_DEP_3) | instskip(SKIP_1) | instid1(VALU_DEP_3)
	v_add_f16_e32 v5, v9, v7
	v_sub_f16_e32 v7, v7, v9
	v_fma_f16 v9, v4, v14, v15
	v_fma_f16 v15, -v4, v14, v15
	s_delay_alu instid0(VALU_DEP_3) | instskip(SKIP_1) | instid1(VALU_DEP_4)
	v_fma_f16 v16, v5, v14, v7
	v_fma_f16 v7, v5, v14, -v7
	v_fma_f16 v9, -v12, v5, v9
	s_delay_alu instid0(VALU_DEP_4) | instskip(NEXT) | instid1(VALU_DEP_4)
	v_fmac_f16_e32 v15, v12, v5
	v_fmac_f16_e32 v16, v4, v12
	s_delay_alu instid0(VALU_DEP_4) | instskip(SKIP_2) | instid1(VALU_DEP_3)
	v_fmac_f16_e32 v7, v4, v12
	s_wait_loadcnt 0x3
	v_lshrrev_b32_e32 v12, 16, v13
	v_pack_b32_f16 v4, v9, v16
	s_delay_alu instid0(VALU_DEP_3)
	v_pack_b32_f16 v5, v15, v7
	ds_store_b32 v34, v4 offset:880
	ds_store_b32 v2, v5 offset:2816
	ds_load_b32 v4, v34 offset:1056
	ds_load_b32 v5, v2 offset:2640
	s_wait_dscnt 0x1
	v_lshrrev_b32_e32 v7, 16, v4
	s_wait_dscnt 0x0
	v_lshrrev_b32_e32 v9, 16, v5
	v_add_f16_e32 v14, v4, v5
	v_sub_f16_e32 v4, v4, v5
	s_delay_alu instid0(VALU_DEP_3) | instskip(SKIP_1) | instid1(VALU_DEP_3)
	v_add_f16_e32 v5, v9, v7
	v_sub_f16_e32 v7, v7, v9
	v_fma_f16 v9, v4, v12, v14
	v_fma_f16 v14, -v4, v12, v14
	s_delay_alu instid0(VALU_DEP_3) | instskip(SKIP_1) | instid1(VALU_DEP_4)
	v_fma_f16 v15, v5, v12, v7
	v_fma_f16 v7, v5, v12, -v7
	v_fma_f16 v9, -v13, v5, v9
	s_delay_alu instid0(VALU_DEP_4) | instskip(SKIP_4) | instid1(VALU_DEP_2)
	v_fmac_f16_e32 v14, v13, v5
	s_wait_loadcnt 0x2
	v_lshrrev_b32_e32 v12, 16, v3
	v_fmac_f16_e32 v15, v4, v13
	v_fmac_f16_e32 v7, v4, v13
	v_pack_b32_f16 v4, v9, v15
	s_delay_alu instid0(VALU_DEP_2)
	v_pack_b32_f16 v5, v14, v7
	ds_store_b32 v34, v4 offset:1056
	ds_store_b32 v2, v5 offset:2640
	ds_load_b32 v4, v34 offset:1232
	ds_load_b32 v5, v2 offset:2464
	s_wait_dscnt 0x1
	v_lshrrev_b32_e32 v7, 16, v4
	s_wait_dscnt 0x0
	v_lshrrev_b32_e32 v9, 16, v5
	v_add_f16_e32 v13, v4, v5
	v_sub_f16_e32 v4, v4, v5
	s_delay_alu instid0(VALU_DEP_3) | instskip(SKIP_1) | instid1(VALU_DEP_3)
	v_add_f16_e32 v5, v9, v7
	v_sub_f16_e32 v7, v7, v9
	v_fma_f16 v9, v4, v12, v13
	v_fma_f16 v13, -v4, v12, v13
	s_delay_alu instid0(VALU_DEP_3) | instskip(SKIP_1) | instid1(VALU_DEP_4)
	v_fma_f16 v14, v5, v12, v7
	v_fma_f16 v7, v5, v12, -v7
	v_fma_f16 v9, -v3, v5, v9
	s_delay_alu instid0(VALU_DEP_4) | instskip(NEXT) | instid1(VALU_DEP_4)
	v_fmac_f16_e32 v13, v3, v5
	v_fmac_f16_e32 v14, v4, v3
	s_delay_alu instid0(VALU_DEP_4) | instskip(NEXT) | instid1(VALU_DEP_2)
	v_fmac_f16_e32 v7, v4, v3
	v_pack_b32_f16 v3, v9, v14
	s_delay_alu instid0(VALU_DEP_2)
	v_pack_b32_f16 v4, v13, v7
	ds_store_b32 v34, v3 offset:1232
	ds_store_b32 v2, v4 offset:2464
	ds_load_b32 v3, v34 offset:1408
	ds_load_b32 v4, v2 offset:2288
	s_wait_loadcnt 0x1
	v_lshrrev_b32_e32 v9, 16, v17
	s_wait_dscnt 0x1
	v_lshrrev_b32_e32 v5, 16, v3
	s_wait_dscnt 0x0
	v_lshrrev_b32_e32 v7, 16, v4
	v_add_f16_e32 v12, v3, v4
	v_sub_f16_e32 v3, v3, v4
	s_delay_alu instid0(VALU_DEP_3) | instskip(SKIP_1) | instid1(VALU_DEP_3)
	v_add_f16_e32 v4, v7, v5
	v_sub_f16_e32 v5, v5, v7
	v_fma_f16 v7, v3, v9, v12
	v_fma_f16 v12, -v3, v9, v12
	s_delay_alu instid0(VALU_DEP_3) | instskip(SKIP_1) | instid1(VALU_DEP_4)
	v_fma_f16 v13, v4, v9, v5
	v_fma_f16 v5, v4, v9, -v5
	v_fma_f16 v7, -v17, v4, v7
	s_delay_alu instid0(VALU_DEP_4) | instskip(NEXT) | instid1(VALU_DEP_4)
	v_fmac_f16_e32 v12, v17, v4
	v_fmac_f16_e32 v13, v3, v17
	s_delay_alu instid0(VALU_DEP_4) | instskip(NEXT) | instid1(VALU_DEP_2)
	v_fmac_f16_e32 v5, v3, v17
	v_pack_b32_f16 v3, v7, v13
	s_delay_alu instid0(VALU_DEP_2)
	v_pack_b32_f16 v4, v12, v5
	ds_store_b32 v34, v3 offset:1408
	ds_store_b32 v2, v4 offset:2288
	ds_load_b32 v3, v34 offset:1584
	ds_load_b32 v4, v2 offset:2112
	s_wait_dscnt 0x1
	v_lshrrev_b32_e32 v5, 16, v3
	s_wait_dscnt 0x0
	v_lshrrev_b32_e32 v7, 16, v4
	v_add_f16_e32 v12, v3, v4
	v_sub_f16_e32 v3, v3, v4
	s_delay_alu instid0(VALU_DEP_3) | instskip(SKIP_3) | instid1(VALU_DEP_1)
	v_add_f16_e32 v4, v7, v5
	v_sub_f16_e32 v5, v5, v7
	s_wait_loadcnt 0x0
	v_lshrrev_b32_e32 v9, 16, v6
	v_fma_f16 v7, v3, v9, v12
	s_delay_alu instid0(VALU_DEP_3) | instskip(SKIP_2) | instid1(VALU_DEP_4)
	v_fma_f16 v13, v4, v9, v5
	v_fma_f16 v12, -v3, v9, v12
	v_fma_f16 v5, v4, v9, -v5
	v_fma_f16 v7, -v6, v4, v7
	s_delay_alu instid0(VALU_DEP_4) | instskip(NEXT) | instid1(VALU_DEP_4)
	v_fmac_f16_e32 v13, v3, v6
	v_fmac_f16_e32 v12, v6, v4
	s_delay_alu instid0(VALU_DEP_4) | instskip(NEXT) | instid1(VALU_DEP_3)
	v_fmac_f16_e32 v5, v3, v6
	v_pack_b32_f16 v3, v7, v13
	s_delay_alu instid0(VALU_DEP_2)
	v_pack_b32_f16 v4, v12, v5
	ds_store_b32 v34, v3 offset:1584
	ds_store_b32 v2, v4 offset:2112
	s_and_saveexec_b32 s1, s0
	s_cbranch_execz .LBB0_19
; %bb.18:
	global_load_b32 v0, v[0:1], off offset:1760
	ds_load_b32 v1, v34 offset:1760
	ds_load_b32 v3, v2 offset:1936
	s_wait_dscnt 0x1
	v_lshrrev_b32_e32 v4, 16, v1
	s_wait_dscnt 0x0
	v_lshrrev_b32_e32 v5, 16, v3
	v_add_f16_e32 v6, v1, v3
	v_sub_f16_e32 v1, v1, v3
	s_delay_alu instid0(VALU_DEP_3) | instskip(SKIP_3) | instid1(VALU_DEP_1)
	v_add_f16_e32 v3, v5, v4
	v_sub_f16_e32 v4, v4, v5
	s_wait_loadcnt 0x0
	v_lshrrev_b32_e32 v7, 16, v0
	v_fma_f16 v5, v1, v7, v6
	s_delay_alu instid0(VALU_DEP_3) | instskip(SKIP_2) | instid1(VALU_DEP_4)
	v_fma_f16 v9, v3, v7, v4
	v_fma_f16 v6, -v1, v7, v6
	v_fma_f16 v4, v3, v7, -v4
	v_fma_f16 v5, -v0, v3, v5
	s_delay_alu instid0(VALU_DEP_4) | instskip(NEXT) | instid1(VALU_DEP_4)
	v_fmac_f16_e32 v9, v1, v0
	v_fmac_f16_e32 v6, v0, v3
	s_delay_alu instid0(VALU_DEP_4) | instskip(NEXT) | instid1(VALU_DEP_3)
	v_fmac_f16_e32 v4, v1, v0
	v_pack_b32_f16 v0, v5, v9
	s_delay_alu instid0(VALU_DEP_2)
	v_pack_b32_f16 v1, v6, v4
	ds_store_b32 v34, v0 offset:1760
	ds_store_b32 v2, v1 offset:1936
.LBB0_19:
	s_wait_alu 0xfffe
	s_or_b32 exec_lo, exec_lo, s1
	v_add_nc_u32_e32 v12, 0x400, v34
	v_add_nc_u32_e32 v16, 0xc00, v34
	global_wb scope:SCOPE_SE
	s_wait_dscnt 0x0
	s_barrier_signal -1
	s_barrier_wait -1
	global_inv scope:SCOPE_SE
	global_wb scope:SCOPE_SE
	s_barrier_signal -1
	s_barrier_wait -1
	global_inv scope:SCOPE_SE
	ds_load_2addr_b32 v[0:1], v12 offset0:184 offset1:206
	ds_load_2addr_b32 v[2:3], v16 offset0:90 offset1:134
	ds_load_2addr_b32 v[4:5], v34 offset1:44
	v_add_nc_u32_e32 v6, 0x600, v34
	ds_load_2addr_b32 v[17:18], v34 offset0:88 offset1:132
	ds_load_2addr_b32 v[21:22], v34 offset0:176 offset1:220
	;; [unrolled: 1-line block ×5, first 2 shown]
	v_add_nc_u32_e32 v6, 0x800, v34
	v_add_nc_u32_e32 v36, 44, v8
	;; [unrolled: 1-line block ×5, first 2 shown]
	ds_load_2addr_b32 v[19:20], v6 offset0:82 offset1:126
	ds_load_2addr_b32 v[37:38], v6 offset0:170 offset1:214
	v_add_nc_u32_e32 v26, 0xdc, v8
	v_add_nc_u32_e32 v25, 0x108, v8
	;; [unrolled: 1-line block ×5, first 2 shown]
	s_wait_dscnt 0x8
	v_pk_add_f16 v9, v0, v3 neg_lo:[0,1] neg_hi:[0,1]
	s_wait_dscnt 0x7
	v_pk_add_f16 v3, v4, v1 neg_lo:[0,1] neg_hi:[0,1]
	v_add_nc_u32_e32 v29, 0x1b8, v8
	v_lshl_add_u32 v7, v8, 2, v34
	v_lshl_add_u32 v15, v36, 3, 0
	v_pk_fma_f16 v30, v0, 2.0, v9 op_sel_hi:[1,0,1] neg_lo:[0,0,1] neg_hi:[0,0,1]
	ds_load_2addr_b32 v[0:1], v16 offset0:2 offset1:46
	s_wait_dscnt 0x3
	v_pk_add_f16 v13, v5, v13 neg_lo:[0,1] neg_hi:[0,1]
	v_pk_add_f16 v14, v17, v14 neg_lo:[0,1] neg_hi:[0,1]
	v_pk_fma_f16 v4, v4, 2.0, v3 op_sel_hi:[1,0,1] neg_lo:[0,0,1] neg_hi:[0,0,1]
	v_pk_add_f16 v2, v42, v2 neg_lo:[0,1] neg_hi:[0,1]
	v_lshl_add_u32 v23, v24, 3, 0
	v_pk_fma_f16 v5, v5, 2.0, v13 op_sel_hi:[1,0,1] neg_lo:[0,0,1] neg_hi:[0,0,1]
	s_wait_dscnt 0x2
	v_pk_add_f16 v19, v18, v19 neg_lo:[0,1] neg_hi:[0,1]
	v_pk_add_f16 v20, v21, v20 neg_lo:[0,1] neg_hi:[0,1]
	s_wait_dscnt 0x1
	v_pk_add_f16 v37, v22, v37 neg_lo:[0,1] neg_hi:[0,1]
	v_pk_add_f16 v38, v39, v38 neg_lo:[0,1] neg_hi:[0,1]
	v_pk_fma_f16 v17, v17, 2.0, v14 op_sel_hi:[1,0,1] neg_lo:[0,0,1] neg_hi:[0,0,1]
	v_lshl_add_u32 v35, v28, 3, 0
	v_pk_fma_f16 v18, v18, 2.0, v19 op_sel_hi:[1,0,1] neg_lo:[0,0,1] neg_hi:[0,0,1]
	v_lshl_add_u32 v43, v27, 3, 0
	;; [unrolled: 2-line block ×4, first 2 shown]
	v_pk_fma_f16 v39, v39, 2.0, v38 op_sel_hi:[1,0,1] neg_lo:[0,0,1] neg_hi:[0,0,1]
	s_wait_dscnt 0x0
	v_pk_add_f16 v0, v40, v0 neg_lo:[0,1] neg_hi:[0,1]
	v_pk_add_f16 v1, v41, v1 neg_lo:[0,1] neg_hi:[0,1]
	v_lshl_add_u32 v46, v31, 3, 0
	v_lshl_add_u32 v47, v32, 3, 0
	;; [unrolled: 1-line block ×3, first 2 shown]
	v_pk_fma_f16 v40, v40, 2.0, v0 op_sel_hi:[1,0,1] neg_lo:[0,0,1] neg_hi:[0,0,1]
	v_pk_fma_f16 v41, v41, 2.0, v1 op_sel_hi:[1,0,1] neg_lo:[0,0,1] neg_hi:[0,0,1]
	;; [unrolled: 1-line block ×3, first 2 shown]
	global_wb scope:SCOPE_SE
	s_barrier_signal -1
	s_barrier_wait -1
	global_inv scope:SCOPE_SE
	ds_store_2addr_b32 v7, v4, v3 offset1:1
	ds_store_2addr_b32 v15, v5, v13 offset1:1
	ds_store_2addr_b32 v23, v17, v14 offset1:1
	ds_store_2addr_b32 v35, v18, v19 offset1:1
	ds_store_2addr_b32 v43, v21, v20 offset1:1
	ds_store_2addr_b32 v44, v22, v37 offset1:1
	ds_store_2addr_b32 v45, v39, v38 offset1:1
	ds_store_2addr_b32 v46, v40, v0 offset1:1
	ds_store_2addr_b32 v47, v41, v1 offset1:1
	ds_store_2addr_b32 v48, v42, v2 offset1:1
	s_and_saveexec_b32 s1, s0
	s_cbranch_execz .LBB0_21
; %bb.20:
	v_lshl_add_u32 v0, v29, 3, 0
	ds_store_2addr_b32 v0, v30, v9 offset1:1
.LBB0_21:
	s_wait_alu 0xfffe
	s_or_b32 exec_lo, exec_lo, s1
	v_add_nc_u32_e32 v13, 0xa00, v34
	global_wb scope:SCOPE_SE
	s_wait_dscnt 0x0
	s_barrier_signal -1
	s_barrier_wait -1
	global_inv scope:SCOPE_SE
	ds_load_2addr_b32 v[0:1], v34 offset1:44
	ds_load_2addr_b32 v[18:19], v12 offset0:206 offset1:250
	ds_load_2addr_b32 v[2:3], v34 offset0:88 offset1:132
	;; [unrolled: 1-line block ×9, first 2 shown]
	v_lshlrev_b32_e32 v35, 1, v36
	v_lshlrev_b32_e32 v37, 1, v24
	;; [unrolled: 1-line block ×9, first 2 shown]
	v_lshrrev_b32_e32 v32, 16, v9
	s_and_saveexec_b32 s1, s0
	s_cbranch_execz .LBB0_23
; %bb.22:
	ds_load_b32 v9, v34 offset:3608
	ds_load_b32 v30, v34 offset:1760
	s_wait_dscnt 0x1
	v_lshrrev_b32_e32 v32, 16, v9
.LBB0_23:
	s_wait_alu 0xfffe
	s_or_b32 exec_lo, exec_lo, s1
	v_and_b32_e32 v31, 1, v8
	v_lshlrev_b32_e32 v46, 1, v8
	s_delay_alu instid0(VALU_DEP_2) | instskip(SKIP_1) | instid1(VALU_DEP_3)
	v_lshlrev_b32_e32 v33, 2, v31
	v_and_or_b32 v35, 0xfc, v35, v31
	v_and_or_b32 v46, 0x7c, v46, v31
	;; [unrolled: 1-line block ×4, first 2 shown]
	global_load_b32 v45, v33, s[4:5]
	v_lshl_add_u32 v47, v35, 2, 0
	s_wait_dscnt 0x0
	v_lshrrev_b32_e32 v33, 16, v30
	v_and_or_b32 v39, 0x1fc, v39, v31
	v_and_or_b32 v40, 0x3fc, v40, v31
	;; [unrolled: 1-line block ×6, first 2 shown]
	v_lshl_add_u32 v46, v46, 2, 0
	v_lshl_add_u32 v37, v37, 2, 0
	;; [unrolled: 1-line block ×9, first 2 shown]
	global_wb scope:SCOPE_SE
	s_wait_loadcnt 0x0
	s_barrier_signal -1
	s_barrier_wait -1
	global_inv scope:SCOPE_SE
	v_pk_mul_f16 v49, v45, v18 op_sel:[0,1]
	v_pk_mul_f16 v50, v45, v19 op_sel:[0,1]
	;; [unrolled: 1-line block ×6, first 2 shown]
	v_lshrrev_b32_e32 v48, 16, v45
	v_pk_mul_f16 v54, v45, v21 op_sel:[0,1]
	v_pk_mul_f16 v55, v45, v14 op_sel:[0,1]
	;; [unrolled: 1-line block ×4, first 2 shown]
	v_pk_fma_f16 v59, v45, v18, v49 op_sel:[0,0,1] op_sel_hi:[1,1,0]
	v_pk_fma_f16 v18, v45, v18, v49 op_sel:[0,0,1] op_sel_hi:[1,0,0] neg_lo:[1,0,0] neg_hi:[1,0,0]
	v_pk_fma_f16 v49, v45, v19, v50 op_sel:[0,0,1] op_sel_hi:[1,1,0]
	v_pk_fma_f16 v19, v45, v19, v50 op_sel:[0,0,1] op_sel_hi:[1,0,0] neg_lo:[1,0,0] neg_hi:[1,0,0]
	;; [unrolled: 2-line block ×6, first 2 shown]
	v_mul_f16_e32 v35, v32, v48
	v_mul_f16_e32 v48, v9, v48
	v_pk_fma_f16 v53, v45, v21, v54 op_sel:[0,0,1] op_sel_hi:[1,1,0]
	v_pk_fma_f16 v21, v45, v21, v54 op_sel:[0,0,1] op_sel_hi:[1,0,0] neg_lo:[1,0,0] neg_hi:[1,0,0]
	v_pk_fma_f16 v54, v45, v14, v55 op_sel:[0,0,1] op_sel_hi:[1,1,0]
	v_pk_fma_f16 v14, v45, v14, v55 op_sel:[0,0,1] op_sel_hi:[1,0,0] neg_lo:[1,0,0] neg_hi:[1,0,0]
	;; [unrolled: 2-line block ×4, first 2 shown]
	v_bfi_b32 v18, 0xffff, v59, v18
	v_bfi_b32 v19, 0xffff, v49, v19
	;; [unrolled: 1-line block ×6, first 2 shown]
	v_fmac_f16_e32 v35, v9, v45
	v_fma_f16 v32, v32, v45, -v48
	v_bfi_b32 v21, 0xffff, v53, v21
	v_bfi_b32 v14, 0xffff, v54, v14
	;; [unrolled: 1-line block ×4, first 2 shown]
	v_pk_add_f16 v18, v0, v18 neg_lo:[0,1] neg_hi:[0,1]
	v_pk_add_f16 v19, v1, v19 neg_lo:[0,1] neg_hi:[0,1]
	;; [unrolled: 1-line block ×6, first 2 shown]
	v_sub_f16_e32 v9, v30, v35
	v_sub_f16_e32 v35, v33, v32
	v_pk_add_f16 v21, v5, v21 neg_lo:[0,1] neg_hi:[0,1]
	v_pk_add_f16 v14, v6, v14 neg_lo:[0,1] neg_hi:[0,1]
	;; [unrolled: 1-line block ×4, first 2 shown]
	v_pk_fma_f16 v0, v0, 2.0, v18 op_sel_hi:[1,0,1] neg_lo:[0,0,1] neg_hi:[0,0,1]
	v_pk_fma_f16 v1, v1, 2.0, v19 op_sel_hi:[1,0,1] neg_lo:[0,0,1] neg_hi:[0,0,1]
	;; [unrolled: 1-line block ×10, first 2 shown]
	ds_store_2addr_b32 v46, v0, v18 offset1:2
	ds_store_2addr_b32 v47, v1, v19 offset1:2
	;; [unrolled: 1-line block ×10, first 2 shown]
	s_and_saveexec_b32 s1, s0
	s_cbranch_execz .LBB0_25
; %bb.24:
	v_lshlrev_b32_e32 v0, 1, v29
	v_fma_f16 v1, v30, 2.0, -v9
	v_fma_f16 v2, v33, 2.0, -v35
	s_delay_alu instid0(VALU_DEP_3) | instskip(NEXT) | instid1(VALU_DEP_2)
	v_and_or_b32 v0, 0x3fc, v0, v31
	v_pack_b32_f16 v1, v1, v2
	v_perm_b32 v2, v35, v9, 0x5040100
	s_delay_alu instid0(VALU_DEP_3)
	v_lshl_add_u32 v0, v0, 2, 0
	ds_store_2addr_b32 v0, v1, v2 offset1:2
.LBB0_25:
	s_wait_alu 0xfffe
	s_or_b32 exec_lo, exec_lo, s1
	v_and_b32_e32 v13, 3, v8
	global_wb scope:SCOPE_SE
	s_wait_dscnt 0x0
	s_barrier_signal -1
	s_barrier_wait -1
	global_inv scope:SCOPE_SE
	v_lshlrev_b32_e32 v0, 3, v13
	v_lshrrev_b32_e32 v14, 2, v8
	v_lshrrev_b32_e32 v15, 2, v36
	v_lshrrev_b32_e32 v16, 2, v24
	v_lshrrev_b32_e32 v17, 2, v28
	global_load_b64 v[6:7], v0, s[4:5] offset:8
	v_lshrrev_b32_e32 v18, 2, v27
	v_lshrrev_b32_e32 v33, 2, v26
	;; [unrolled: 1-line block ×3, first 2 shown]
	v_and_b32_e32 v42, 0xff, v8
	v_and_b32_e32 v44, 0xff, v24
	v_add_nc_u32_e32 v38, 0x400, v34
	v_add_nc_u32_e32 v37, 0x800, v34
	v_and_b32_e32 v43, 0xff, v36
	v_mul_u32_u24_e32 v14, 12, v14
	v_mul_u32_u24_e32 v15, 12, v15
	;; [unrolled: 1-line block ×7, first 2 shown]
	v_mul_lo_u16 v42, 0xab, v42
	v_mul_lo_u16 v44, 0xab, v44
	ds_load_2addr_b32 v[4:5], v34 offset1:44
	ds_load_2addr_b32 v[2:3], v34 offset0:88 offset1:132
	ds_load_2addr_b32 v[0:1], v34 offset0:176 offset1:220
	v_add_nc_u32_e32 v12, 0xc00, v34
	ds_load_b32 v19, v34 offset:3520
	ds_load_2addr_b32 v[20:21], v38 offset0:8 offset1:52
	ds_load_2addr_b32 v[22:23], v37 offset0:104 offset1:148
	;; [unrolled: 1-line block ×7, first 2 shown]
	v_mul_lo_u16 v43, 0xab, v43
	v_or_b32_e32 v45, v14, v13
	v_or_b32_e32 v15, v15, v13
	;; [unrolled: 1-line block ×7, first 2 shown]
	v_lshrrev_b16 v16, 11, v42
	v_lshrrev_b16 v13, 11, v44
	;; [unrolled: 1-line block ×3, first 2 shown]
	v_lshl_add_u32 v43, v15, 2, 0
	v_lshl_add_u32 v44, v46, 2, 0
	;; [unrolled: 1-line block ×3, first 2 shown]
	v_mul_lo_u16 v15, v16, 12
	v_mul_lo_u16 v18, v13, 12
	v_lshl_add_u32 v42, v45, 2, 0
	v_lshl_add_u32 v45, v17, 2, 0
	v_mul_lo_u16 v17, v14, 12
	v_sub_nc_u16 v15, v8, v15
	v_sub_nc_u16 v24, v24, v18
	s_wait_dscnt 0x6
	v_lshrrev_b32_e32 v65, 16, v21
	s_wait_dscnt 0x5
	v_lshrrev_b32_e32 v66, 16, v22
	v_sub_nc_u16 v54, v36, v17
	v_and_b32_e32 v17, 0xff, v15
	v_and_b32_e32 v15, 0xff, v24
	s_wait_dscnt 0x4
	v_lshrrev_b32_e32 v67, 16, v25
	v_lshrrev_b32_e32 v68, 16, v23
	;; [unrolled: 1-line block ×4, first 2 shown]
	s_wait_dscnt 0x3
	v_lshrrev_b32_e32 v56, 16, v27
	s_wait_dscnt 0x2
	v_lshrrev_b32_e32 v57, 16, v29
	v_lshrrev_b32_e32 v58, 16, v28
	;; [unrolled: 1-line block ×3, first 2 shown]
	s_wait_dscnt 0x1
	v_lshrrev_b32_e32 v60, 16, v31
	s_wait_dscnt 0x0
	v_lshrrev_b32_e32 v61, 16, v39
	v_lshrrev_b32_e32 v62, 16, v32
	;; [unrolled: 1-line block ×10, first 2 shown]
	v_and_b32_e32 v18, 0xff, v54
	v_mul_u32_u24_e32 v54, 6, v17
	global_wb scope:SCOPE_SE
	s_wait_loadcnt 0x0
	s_barrier_signal -1
	s_barrier_wait -1
	v_mul_u32_u24_e32 v70, 6, v18
	global_inv scope:SCOPE_SE
	v_lshl_add_u32 v33, v33, 2, 0
	v_lshl_add_u32 v41, v41, 2, 0
	v_lshlrev_b32_e32 v54, 2, v54
	v_and_b32_e32 v16, 0xffff, v16
	v_and_b32_e32 v14, 0xffff, v14
	;; [unrolled: 1-line block ×3, first 2 shown]
	v_lshlrev_b32_e32 v18, 2, v18
	v_cmp_gt_u32_e64 s0, 40, v8
	v_lshrrev_b32_e32 v69, 16, v6
	v_lshrrev_b32_e32 v24, 16, v7
	s_delay_alu instid0(VALU_DEP_2) | instskip(SKIP_1) | instid1(VALU_DEP_3)
	v_mul_f16_e32 v71, v69, v65
	v_mul_f16_e32 v72, v69, v21
	;; [unrolled: 1-line block ×28, first 2 shown]
	v_fma_f16 v65, v6, v65, -v72
	v_fma_f16 v66, v7, v66, -v74
	v_fmac_f16_e32 v71, v6, v21
	v_fmac_f16_e32 v73, v7, v22
	;; [unrolled: 1-line block ×3, first 2 shown]
	v_fma_f16 v21, v6, v67, -v76
	v_fmac_f16_e32 v77, v7, v23
	v_fma_f16 v22, v7, v68, -v78
	v_fmac_f16_e32 v79, v26, v6
	;; [unrolled: 2-line block ×11, first 2 shown]
	v_fma_f16 v7, v53, v7, -v24
	v_add_f16_e32 v24, v71, v73
	v_add_f16_e32 v40, v65, v66
	;; [unrolled: 1-line block ×3, first 2 shown]
	v_sub_f16_e32 v57, v21, v22
	v_add_f16_e32 v58, v48, v21
	v_add_f16_e32 v21, v21, v22
	;; [unrolled: 1-line block ×3, first 2 shown]
	v_sub_f16_e32 v62, v23, v25
	v_add_f16_e32 v64, v49, v23
	v_add_f16_e32 v23, v23, v25
	;; [unrolled: 1-line block ×4, first 2 shown]
	v_sub_f16_e32 v86, v91, v93
	v_add_f16_e32 v88, v95, v96
	v_sub_f16_e32 v90, v6, v7
	v_add_f16_e32 v91, v63, v6
	v_add_f16_e32 v6, v6, v7
	;; [unrolled: 1-line block ×3, first 2 shown]
	v_sub_f16_e32 v32, v65, v66
	v_add_f16_e32 v39, v47, v65
	v_sub_f16_e32 v53, v71, v73
	v_add_f16_e32 v55, v5, v75
	;; [unrolled: 2-line block ×3, first 2 shown]
	v_add_f16_e32 v68, v83, v85
	v_sub_f16_e32 v69, v26, v27
	v_add_f16_e32 v71, v50, v26
	v_add_f16_e32 v26, v26, v27
	v_sub_f16_e32 v72, v83, v85
	v_add_f16_e32 v75, v87, v89
	v_sub_f16_e32 v76, v28, v29
	v_add_f16_e32 v78, v51, v28
	v_add_f16_e32 v28, v28, v29
	v_sub_f16_e32 v83, v30, v31
	v_add_f16_e32 v84, v52, v30
	v_add_f16_e32 v30, v30, v31
	v_fma_f16 v4, -0.5, v24, v4
	v_fmac_f16_e32 v47, -0.5, v40
	v_add_f16_e32 v74, v0, v87
	v_fmac_f16_e32 v5, -0.5, v56
	v_fmac_f16_e32 v48, -0.5, v21
	v_add_f16_e32 v60, v2, v79
	v_sub_f16_e32 v65, v79, v81
	v_sub_f16_e32 v79, v87, v89
	v_add_f16_e32 v87, v20, v95
	v_sub_f16_e32 v92, v95, v96
	v_fma_f16 v2, -0.5, v61, v2
	v_fmac_f16_e32 v49, -0.5, v23
	v_fmac_f16_e32 v20, -0.5, v88
	;; [unrolled: 1-line block ×3, first 2 shown]
	v_add_f16_e32 v19, v19, v73
	v_add_f16_e32 v24, v39, v66
	v_fmac_f16_e32 v3, -0.5, v68
	v_fmac_f16_e32 v50, -0.5, v26
	v_fma_f16 v0, -0.5, v75, v0
	v_fmac_f16_e32 v51, -0.5, v28
	v_fmac_f16_e32 v1, -0.5, v82
	;; [unrolled: 1-line block ×3, first 2 shown]
	v_fmamk_f16 v6, v32, 0xbaee, v4
	v_fmac_f16_e32 v4, 0x3aee, v32
	v_fmamk_f16 v32, v53, 0x3aee, v47
	v_fmac_f16_e32 v47, 0xbaee, v53
	v_add_f16_e32 v39, v55, v77
	v_add_f16_e32 v22, v58, v22
	;; [unrolled: 1-line block ×4, first 2 shown]
	v_fmamk_f16 v40, v57, 0xbaee, v5
	v_fmamk_f16 v53, v59, 0x3aee, v48
	v_fmac_f16_e32 v5, 0x3aee, v57
	v_fmac_f16_e32 v48, 0xbaee, v59
	v_add_f16_e32 v21, v60, v81
	v_add_f16_e32 v25, v64, v25
	;; [unrolled: 1-line block ×4, first 2 shown]
	v_fmamk_f16 v55, v62, 0xbaee, v2
	v_fmamk_f16 v56, v65, 0x3aee, v49
	v_fmac_f16_e32 v49, 0xbaee, v65
	v_fmamk_f16 v64, v90, 0xbaee, v20
	v_fmac_f16_e32 v20, 0x3aee, v90
	;; [unrolled: 2-line block ×3, first 2 shown]
	v_add_f16_e32 v28, v80, v93
	v_add_f16_e32 v31, v84, v31
	;; [unrolled: 1-line block ×4, first 2 shown]
	v_fmac_f16_e32 v2, 0x3aee, v62
	v_fmamk_f16 v57, v69, 0xbaee, v3
	v_fmac_f16_e32 v3, 0x3aee, v69
	v_fmamk_f16 v58, v72, 0x3aee, v50
	;; [unrolled: 2-line block ×6, first 2 shown]
	v_fmac_f16_e32 v52, 0xbaee, v86
	v_pack_b32_f16 v19, v19, v24
	v_pack_b32_f16 v6, v6, v32
	;; [unrolled: 1-line block ×21, first 2 shown]
	ds_store_2addr_b32 v42, v19, v6 offset1:4
	ds_store_b32 v42, v4 offset:32
	ds_store_2addr_b32 v43, v22, v26 offset1:4
	ds_store_b32 v43, v5 offset:32
	;; [unrolled: 2-line block ×7, first 2 shown]
	v_mul_u32_u24_e32 v20, 6, v15
	v_lshlrev_b32_e32 v19, 2, v70
	global_wb scope:SCOPE_SE
	s_wait_dscnt 0x0
	s_barrier_signal -1
	s_barrier_wait -1
	global_inv scope:SCOPE_SE
	global_load_b128 v[0:3], v54, s[4:5] offset:40
	v_lshlrev_b32_e32 v27, 2, v20
	s_clause 0x4
	global_load_b64 v[23:24], v54, s[4:5] offset:56
	global_load_b128 v[4:7], v19, s[4:5] offset:40
	global_load_b64 v[25:26], v19, s[4:5] offset:56
	global_load_b128 v[19:22], v27, s[4:5] offset:40
	global_load_b64 v[27:28], v27, s[4:5] offset:56
	v_mul_u32_u24_e32 v33, 0x150, v16
	v_mul_u32_u24_e32 v47, 0x150, v14
	;; [unrolled: 1-line block ×3, first 2 shown]
	v_lshlrev_b32_e32 v50, 2, v17
	ds_load_2addr_b32 v[13:14], v37 offset0:104 offset1:148
	ds_load_2addr_b32 v[16:17], v12 offset0:24 offset1:68
	;; [unrolled: 1-line block ×7, first 2 shown]
	v_lshlrev_b32_e32 v12, 2, v15
	ds_load_2addr_b32 v[45:46], v38 offset0:96 offset1:140
	v_add3_u32 v52, 0, v47, v18
	v_add3_u32 v33, 0, v33, v50
	v_add_nc_u32_e32 v49, 0x600, v34
	v_add3_u32 v53, 0, v48, v12
	ds_load_b32 v12, v34 offset:3520
	ds_load_2addr_b32 v[47:48], v34 offset0:88 offset1:132
	ds_load_2addr_b32 v[50:51], v34 offset1:44
	global_wb scope:SCOPE_SE
	s_wait_loadcnt_dscnt 0x0
	s_barrier_signal -1
	s_barrier_wait -1
	global_inv scope:SCOPE_SE
	v_lshrrev_b32_e32 v15, 16, v14
	v_lshrrev_b32_e32 v18, 16, v16
	;; [unrolled: 1-line block ×39, first 2 shown]
	v_mul_f16_e32 v91, v73, v66
	v_mul_f16_e32 v73, v73, v48
	v_mul_f16_e32 v92, v74, v67
	v_mul_f16_e32 v74, v74, v31
	v_mul_f16_e32 v95, v15, v77
	v_mul_f16_e32 v77, v14, v77
	v_mul_f16_e32 v96, v18, v78
	v_mul_f16_e32 v78, v16, v78
	v_mul_f16_e32 v93, v75, v68
	v_mul_f16_e32 v75, v75, v46
	v_mul_f16_e32 v94, v76, v69
	v_mul_f16_e32 v76, v76, v41
	v_mul_f16_e32 v97, v54, v79
	v_mul_f16_e32 v79, v29, v79
	v_mul_f16_e32 v98, v55, v80
	v_mul_f16_e32 v80, v32, v80
	v_mul_f16_e32 v99, v56, v81
	v_mul_f16_e32 v81, v39, v81
	v_mul_f16_e32 v100, v57, v82
	v_mul_f16_e32 v82, v42, v82
	v_mul_f16_e32 v101, v58, v83
	v_mul_f16_e32 v83, v43, v83
	v_mul_f16_e32 v102, v59, v84
	v_mul_f16_e32 v84, v17, v84
	v_mul_f16_e32 v103, v60, v85
	v_mul_f16_e32 v85, v30, v85
	v_mul_f16_e32 v104, v61, v86
	v_mul_f16_e32 v86, v45, v86
	v_mul_f16_e32 v107, v64, v89
	v_mul_f16_e32 v89, v44, v89
	v_mul_f16_e32 v108, v65, v90
	v_mul_f16_e32 v90, v12, v90
	v_mul_f16_e32 v105, v62, v87
	v_mul_f16_e32 v87, v40, v87
	v_mul_f16_e32 v106, v63, v88
	v_mul_f16_e32 v88, v13, v88
	v_fma_f16 v66, v0, v66, -v73
	v_fma_f16 v67, v1, v67, -v74
	v_fmac_f16_e32 v91, v0, v48
	v_fmac_f16_e32 v92, v1, v31
	v_fma_f16 v0, v15, v23, -v77
	v_fma_f16 v1, v18, v24, -v78
	v_fmac_f16_e32 v95, v14, v23
	v_fmac_f16_e32 v96, v16, v24
	;; [unrolled: 4-line block ×3, first 2 shown]
	v_fmac_f16_e32 v98, v32, v5
	v_fmac_f16_e32 v97, v29, v4
	v_fma_f16 v2, v54, v4, -v79
	v_fma_f16 v3, v55, v5, -v80
	v_fmac_f16_e32 v99, v39, v6
	v_fma_f16 v4, v56, v6, -v81
	v_fmac_f16_e32 v100, v42, v7
	;; [unrolled: 2-line block ×10, first 2 shown]
	v_fma_f16 v13, v63, v22, -v88
	v_add_f16_e32 v18, v91, v96
	v_add_f16_e32 v19, v66, v1
	;; [unrolled: 1-line block ×4, first 2 shown]
	v_sub_f16_e32 v20, v91, v96
	v_sub_f16_e32 v1, v66, v1
	;; [unrolled: 1-line block ×4, first 2 shown]
	v_add_f16_e32 v24, v93, v94
	v_add_f16_e32 v25, v68, v69
	v_sub_f16_e32 v26, v94, v93
	v_sub_f16_e32 v27, v69, v68
	v_add_f16_e32 v28, v97, v102
	v_add_f16_e32 v29, v2, v7
	v_sub_f16_e32 v30, v97, v102
	v_sub_f16_e32 v2, v2, v7
	;; [unrolled: 4-line block ×4, first 2 shown]
	v_add_f16_e32 v5, v103, v108
	v_add_f16_e32 v41, v14, v12
	v_sub_f16_e32 v12, v14, v12
	v_add_f16_e32 v14, v104, v107
	v_add_f16_e32 v43, v15, v17
	v_sub_f16_e32 v44, v104, v107
	v_sub_f16_e32 v15, v15, v17
	v_add_f16_e32 v17, v105, v106
	v_add_f16_e32 v45, v16, v13
	v_sub_f16_e32 v46, v106, v105
	;; [unrolled: 4-line block ×3, first 2 shown]
	v_sub_f16_e32 v54, v21, v18
	v_sub_f16_e32 v55, v22, v19
	;; [unrolled: 1-line block ×6, first 2 shown]
	v_add_f16_e32 v56, v26, v23
	v_add_f16_e32 v57, v27, v0
	v_sub_f16_e32 v58, v26, v23
	v_sub_f16_e32 v59, v27, v0
	v_sub_f16_e32 v23, v23, v20
	v_sub_f16_e32 v0, v0, v1
	v_add_f16_e32 v60, v7, v28
	v_add_f16_e32 v61, v31, v29
	v_sub_f16_e32 v62, v7, v28
	v_sub_f16_e32 v63, v31, v29
	v_sub_f16_e32 v7, v6, v7
	v_sub_f16_e32 v31, v39, v31
	;; [unrolled: 6-line block ×3, first 2 shown]
	v_add_f16_e32 v68, v14, v5
	v_add_f16_e32 v69, v43, v41
	v_sub_f16_e32 v29, v29, v39
	v_sub_f16_e32 v73, v14, v5
	;; [unrolled: 1-line block ×3, first 2 shown]
	v_add_f16_e32 v75, v46, v44
	v_sub_f16_e32 v77, v46, v44
	v_sub_f16_e32 v78, v13, v15
	;; [unrolled: 1-line block ×3, first 2 shown]
	v_add_f16_e32 v16, v24, v16
	v_add_f16_e32 v24, v25, v48
	v_sub_f16_e32 v26, v20, v26
	v_sub_f16_e32 v27, v1, v27
	;; [unrolled: 1-line block ×9, first 2 shown]
	v_add_f16_e32 v76, v13, v15
	v_sub_f16_e32 v44, v44, v42
	v_add_f16_e32 v20, v56, v20
	v_add_f16_e32 v1, v57, v1
	v_mul_f16_e32 v15, 0x3a52, v18
	v_mul_f16_e32 v18, 0x3a52, v19
	v_mul_f16_e32 v19, 0x2b26, v21
	v_mul_f16_e32 v25, 0x2b26, v22
	v_mul_f16_e32 v48, 0x3846, v58
	v_mul_f16_e32 v56, 0x3846, v59
	v_mul_f16_e32 v57, 0xbb00, v23
	v_mul_f16_e32 v58, 0xbb00, v0
	v_add_f16_e32 v6, v6, v60
	v_add_f16_e32 v39, v39, v61
	;; [unrolled: 1-line block ×4, first 2 shown]
	v_mul_f16_e32 v59, 0x2b26, v7
	v_mul_f16_e32 v60, 0x2b26, v31
	v_mul_f16_e32 v61, 0x3846, v66
	v_mul_f16_e32 v64, 0x3846, v67
	v_mul_f16_e32 v65, 0xbb00, v32
	v_mul_f16_e32 v66, 0xbb00, v3
	v_add_f16_e32 v17, v17, v68
	v_add_f16_e32 v45, v45, v69
	v_sub_f16_e32 v46, v42, v46
	v_sub_f16_e32 v13, v12, v13
	v_mul_f16_e32 v29, 0x3a52, v29
	v_add_f16_e32 v42, v75, v42
	v_mul_f16_e32 v67, 0x2b26, v14
	v_mul_f16_e32 v69, 0x3846, v77
	;; [unrolled: 1-line block ×4, first 2 shown]
	v_add_f16_e32 v50, v16, v50
	v_add_f16_e32 v70, v24, v70
	v_mul_f16_e32 v28, 0x3a52, v28
	v_add_f16_e32 v12, v76, v12
	v_mul_f16_e32 v5, 0x3a52, v5
	v_mul_f16_e32 v41, 0x3a52, v41
	;; [unrolled: 1-line block ×4, first 2 shown]
	v_fmamk_f16 v21, v21, 0x2b26, v15
	v_fmamk_f16 v22, v22, 0x2b26, v18
	v_fma_f16 v19, v54, 0x39e0, -v19
	v_fma_f16 v25, v55, 0x39e0, -v25
	;; [unrolled: 1-line block ×4, first 2 shown]
	v_fmamk_f16 v55, v26, 0xb574, v48
	v_fmamk_f16 v78, v27, 0xb574, v56
	v_fma_f16 v23, v23, 0xbb00, -v48
	v_fma_f16 v0, v0, 0xbb00, -v56
	v_fma_f16 v26, v26, 0x3574, -v57
	v_fma_f16 v27, v27, 0x3574, -v58
	v_add_f16_e32 v48, v6, v51
	v_add_f16_e32 v51, v39, v71
	v_fma_f16 v56, v62, 0x39e0, -v59
	v_fma_f16 v57, v63, 0x39e0, -v60
	v_fmamk_f16 v58, v40, 0xb574, v61
	v_fmamk_f16 v59, v4, 0xb574, v64
	v_fma_f16 v3, v3, 0xbb00, -v64
	v_fma_f16 v60, v40, 0x3574, -v65
	;; [unrolled: 1-line block ×3, first 2 shown]
	v_add_f16_e32 v15, v17, v47
	v_add_f16_e32 v40, v45, v72
	v_fmamk_f16 v31, v31, 0x2b26, v29
	v_fma_f16 v29, v63, 0xb9e0, -v29
	v_fma_f16 v47, v73, 0x39e0, -v67
	v_fmamk_f16 v63, v13, 0xb574, v75
	v_fma_f16 v65, v79, 0xbb00, -v75
	v_fma_f16 v67, v13, 0x3574, -v77
	v_fmamk_f16 v13, v16, 0xbcab, v50
	v_fmamk_f16 v16, v24, 0xbcab, v70
	;; [unrolled: 1-line block ×3, first 2 shown]
	v_fma_f16 v28, v62, 0xb9e0, -v28
	v_fma_f16 v32, v32, 0xbb00, -v61
	v_fmamk_f16 v14, v14, 0x2b26, v5
	v_fmamk_f16 v43, v43, 0x2b26, v41
	v_fma_f16 v61, v74, 0x39e0, -v68
	v_fma_f16 v5, v73, 0xb9e0, -v5
	;; [unrolled: 1-line block ×3, first 2 shown]
	v_fmamk_f16 v62, v46, 0xb574, v69
	v_fma_f16 v64, v44, 0xbb00, -v69
	v_fma_f16 v66, v46, 0x3574, -v76
	v_fmac_f16_e32 v78, 0xb70e, v1
	v_fmac_f16_e32 v0, 0xb70e, v1
	;; [unrolled: 1-line block ×3, first 2 shown]
	v_fmamk_f16 v1, v6, 0xbcab, v48
	v_fmamk_f16 v6, v39, 0xbcab, v51
	v_fmac_f16_e32 v59, 0xb70e, v2
	v_fmac_f16_e32 v3, 0xb70e, v2
	;; [unrolled: 1-line block ×3, first 2 shown]
	v_fmamk_f16 v2, v17, 0xbcab, v15
	v_fmamk_f16 v17, v45, 0xbcab, v40
	v_fmac_f16_e32 v55, 0xb70e, v20
	v_fmac_f16_e32 v23, 0xb70e, v20
	;; [unrolled: 1-line block ×6, first 2 shown]
	v_add_f16_e32 v12, v21, v13
	v_add_f16_e32 v20, v22, v16
	v_add_f16_e32 v19, v19, v13
	v_add_f16_e32 v21, v25, v16
	v_add_f16_e32 v13, v54, v13
	v_add_f16_e32 v16, v18, v16
	v_fmac_f16_e32 v58, 0xb70e, v30
	v_fmac_f16_e32 v32, 0xb70e, v30
	;; [unrolled: 1-line block ×6, first 2 shown]
	v_add_f16_e32 v7, v7, v1
	v_add_f16_e32 v18, v31, v6
	;; [unrolled: 1-line block ×12, first 2 shown]
	v_pack_b32_f16 v30, v48, v51
	v_add_f16_e32 v51, v78, v12
	v_sub_f16_e32 v54, v20, v55
	v_add_f16_e32 v56, v27, v13
	v_sub_f16_e32 v57, v16, v26
	v_sub_f16_e32 v61, v19, v0
	v_add_f16_e32 v68, v23, v21
	v_add_f16_e32 v0, v0, v19
	v_sub_f16_e32 v23, v21, v23
	v_sub_f16_e32 v27, v13, v27
	v_add_f16_e32 v26, v26, v16
	v_sub_f16_e32 v69, v12, v78
	v_add_f16_e32 v55, v55, v20
	v_pack_b32_f16 v24, v50, v70
	v_add_f16_e32 v70, v59, v7
	v_sub_f16_e32 v71, v18, v58
	v_sub_f16_e32 v74, v22, v3
	v_add_f16_e32 v75, v32, v25
	v_add_f16_e32 v12, v3, v22
	v_sub_f16_e32 v39, v25, v32
	v_sub_f16_e32 v13, v1, v4
	v_add_f16_e32 v44, v60, v6
	v_sub_f16_e32 v14, v7, v59
	v_add_f16_e32 v45, v58, v18
	v_add_f16_e32 v16, v63, v28
	v_sub_f16_e32 v42, v29, v62
	v_add_f16_e32 v17, v67, v2
	v_sub_f16_e32 v41, v5, v66
	v_sub_f16_e32 v18, v31, v65
	v_add_f16_e32 v43, v64, v46
	v_add_f16_e32 v19, v65, v31
	v_sub_f16_e32 v46, v46, v64
	v_add_f16_e32 v72, v4, v1
	v_sub_f16_e32 v73, v6, v60
	v_sub_f16_e32 v20, v2, v67
	v_add_f16_e32 v47, v66, v5
	v_sub_f16_e32 v21, v28, v63
	v_add_f16_e32 v48, v62, v29
	v_pack_b32_f16 v1, v51, v54
	v_pack_b32_f16 v2, v56, v57
	;; [unrolled: 1-line block ×19, first 2 shown]
	ds_store_2addr_b32 v33, v24, v1 offset1:12
	ds_store_2addr_b32 v33, v2, v3 offset0:24 offset1:36
	ds_store_2addr_b32 v33, v0, v4 offset0:48 offset1:60
	ds_store_b32 v33, v5 offset:288
	ds_store_2addr_b32 v52, v30, v6 offset1:12
	ds_store_2addr_b32 v52, v7, v22 offset0:24 offset1:36
	ds_store_2addr_b32 v52, v23, v25 offset0:48 offset1:60
	ds_store_b32 v52, v26 offset:288
	;; [unrolled: 4-line block ×3, first 2 shown]
	global_wb scope:SCOPE_SE
	s_wait_dscnt 0x0
	s_barrier_signal -1
	s_barrier_wait -1
	global_inv scope:SCOPE_SE
	ds_load_2addr_b32 v[22:23], v34 offset1:84
	ds_load_2addr_b32 v[30:31], v34 offset0:168 offset1:252
	ds_load_2addr_b32 v[28:29], v38 offset0:80 offset1:164
	;; [unrolled: 1-line block ×4, first 2 shown]
	ds_load_b32 v50, v34 offset:3360
	s_and_saveexec_b32 s1, s0
	s_cbranch_execz .LBB0_27
; %bb.26:
	v_add_nc_u32_e32 v0, 0x200, v34
	v_add_nc_u32_e32 v1, 0xa00, v34
	ds_load_2addr_b32 v[12:13], v34 offset0:44 offset1:128
	ds_load_2addr_b32 v[16:17], v38 offset0:124 offset1:208
	;; [unrolled: 1-line block ×5, first 2 shown]
	ds_load_b32 v9, v34 offset:3536
	s_wait_dscnt 0x3
	v_lshrrev_b32_e32 v43, 16, v18
	v_lshrrev_b32_e32 v39, 16, v12
	;; [unrolled: 1-line block ×6, first 2 shown]
	s_wait_dscnt 0x2
	v_lshrrev_b32_e32 v45, 16, v14
	v_lshrrev_b32_e32 v40, 16, v15
	s_wait_dscnt 0x1
	v_lshrrev_b32_e32 v47, 16, v20
	v_lshrrev_b32_e32 v48, 16, v21
	s_wait_dscnt 0x0
	v_lshrrev_b32_e32 v35, 16, v9
.LBB0_27:
	s_wait_alu 0xfffe
	s_or_b32 exec_lo, exec_lo, s1
	v_mul_u32_u24_e32 v0, 10, v8
	s_wait_dscnt 0x0
	v_lshrrev_b32_e32 v53, 16, v50
	v_lshrrev_b32_e32 v61, 16, v23
	;; [unrolled: 1-line block ×4, first 2 shown]
	v_lshlrev_b32_e32 v32, 2, v0
	v_lshrrev_b32_e32 v55, 16, v27
	v_lshrrev_b32_e32 v56, 16, v26
	;; [unrolled: 1-line block ×4, first 2 shown]
	s_clause 0x2
	global_load_b128 v[0:3], v32, s[4:5] offset:328
	global_load_b128 v[4:7], v32, s[4:5] offset:344
	global_load_b64 v[32:33], v32, s[4:5] offset:360
	v_lshrrev_b32_e32 v59, 16, v31
	v_lshrrev_b32_e32 v60, 16, v30
	;; [unrolled: 1-line block ×3, first 2 shown]
	global_wb scope:SCOPE_SE
	s_wait_loadcnt 0x0
	s_barrier_signal -1
	s_barrier_wait -1
	global_inv scope:SCOPE_SE
	v_lshrrev_b32_e32 v62, 16, v0
	v_lshrrev_b32_e32 v63, 16, v1
	;; [unrolled: 1-line block ×10, first 2 shown]
	v_mul_f16_e32 v72, v62, v61
	v_mul_f16_e32 v62, v62, v23
	;; [unrolled: 1-line block ×20, first 2 shown]
	v_fmac_f16_e32 v72, v0, v23
	v_fma_f16 v0, v0, v61, -v62
	v_fma_f16 v23, v53, v33, -v71
	v_fmac_f16_e32 v73, v1, v30
	v_fma_f16 v1, v1, v60, -v63
	v_fmac_f16_e32 v74, v2, v31
	;; [unrolled: 2-line block ×8, first 2 shown]
	v_fmac_f16_e32 v81, v50, v33
	v_fma_f16 v24, v52, v32, -v70
	v_add_f16_e32 v25, v72, v22
	v_add_f16_e32 v26, v0, v51
	;; [unrolled: 1-line block ×3, first 2 shown]
	v_sub_f16_e32 v0, v0, v23
	v_add_f16_e32 v27, v72, v81
	v_add_f16_e32 v31, v1, v24
	v_sub_f16_e32 v33, v1, v24
	v_add_f16_e32 v52, v2, v7
	v_sub_f16_e32 v54, v2, v7
	v_sub_f16_e32 v56, v3, v6
	v_add_f16_e32 v57, v3, v6
	v_sub_f16_e32 v59, v4, v5
	v_add_f16_e32 v61, v4, v5
	v_add_f16_e32 v25, v25, v73
	;; [unrolled: 1-line block ×3, first 2 shown]
	v_mul_f16_e32 v26, 0xb853, v0
	v_mul_f16_e32 v64, 0xbb47, v0
	;; [unrolled: 1-line block ×5, first 2 shown]
	v_sub_f16_e32 v29, v72, v81
	v_add_f16_e32 v30, v73, v80
	v_sub_f16_e32 v32, v73, v80
	v_add_f16_e32 v50, v74, v79
	;; [unrolled: 2-line block ×4, first 2 shown]
	v_sub_f16_e32 v62, v76, v77
	v_mul_f16_e32 v63, 0x3abb, v28
	v_mul_f16_e32 v65, 0x36a6, v28
	;; [unrolled: 1-line block ×45, first 2 shown]
	v_add_f16_e32 v25, v25, v74
	v_add_f16_e32 v1, v1, v2
	v_fmamk_f16 v2, v27, 0x3abb, v26
	v_fma_f16 v26, v27, 0x3abb, -v26
	v_fmamk_f16 v110, v27, 0x36a6, v64
	v_fma_f16 v64, v27, 0x36a6, -v64
	;; [unrolled: 2-line block ×5, first 2 shown]
	v_fmamk_f16 v74, v29, 0x3853, v63
	v_fmac_f16_e32 v63, 0xb853, v29
	v_fmamk_f16 v111, v29, 0x3b47, v65
	v_fmac_f16_e32 v65, 0xbb47, v29
	;; [unrolled: 2-line block ×5, first 2 shown]
	v_fmamk_f16 v27, v30, 0x36a6, v70
	v_fmamk_f16 v29, v32, 0x3b47, v71
	v_fma_f16 v70, v30, 0x36a6, -v70
	v_fmac_f16_e32 v71, 0xbb47, v32
	v_fmamk_f16 v118, v30, 0xb93d, v72
	v_fmamk_f16 v119, v32, 0x3a0c, v73
	v_fma_f16 v72, v30, 0xb93d, -v72
	v_fmac_f16_e32 v73, 0xba0c, v32
	;; [unrolled: 4-line block ×7, first 2 shown]
	v_fma_f16 v128, 0x36a6, v50, v90
	v_fma_f16 v129, 0xbb47, v53, v91
	v_fma_f16 v90, v50, 0x36a6, -v90
	v_fmac_f16_e32 v91, 0x3b47, v53
	v_fma_f16 v130, 0x3abb, v50, v92
	v_fma_f16 v131, 0x3853, v53, v93
	v_fma_f16 v92, v50, 0x3abb, -v92
	v_fmac_f16_e32 v93, 0xb853, v53
	v_fma_f16 v132, 0xb93d, v50, v54
	v_fma_f16 v50, v50, 0xb93d, -v54
	v_fmamk_f16 v54, v53, 0x3a0c, v52
	v_fmac_f16_e32 v52, 0xba0c, v53
	v_fmamk_f16 v53, v55, 0xb93d, v94
	v_fma_f16 v94, v55, 0xb93d, -v94
	v_fma_f16 v133, 0xb08e, v55, v95
	v_fma_f16 v95, v55, 0xb08e, -v95
	v_fma_f16 v134, 0x3abb, v55, v96
	;; [unrolled: 2-line block ×4, first 2 shown]
	v_fma_f16 v55, v55, 0x36a6, -v56
	v_fmamk_f16 v56, v58, 0x3a0c, v98
	v_fmac_f16_e32 v98, 0xba0c, v58
	v_fma_f16 v137, 0xbbeb, v58, v99
	v_fmac_f16_e32 v99, 0x3beb, v58
	v_fma_f16 v138, 0x3853, v58, v100
	;; [unrolled: 2-line block ×4, first 2 shown]
	v_fmac_f16_e32 v57, 0x3b47, v58
	v_fmamk_f16 v58, v60, 0xbbad, v102
	v_fma_f16 v102, v60, 0xbbad, -v102
	v_fma_f16 v141, 0x3abb, v60, v103
	v_fma_f16 v103, v60, 0x3abb, -v103
	v_fma_f16 v142, 0xb93d, v60, v104
	;; [unrolled: 2-line block ×4, first 2 shown]
	v_fma_f16 v59, v60, 0xb08e, -v59
	v_fmamk_f16 v60, v62, 0x3482, v106
	v_fmac_f16_e32 v106, 0xb482, v62
	v_fma_f16 v145, 0xb853, v62, v107
	v_fmac_f16_e32 v107, 0x3853, v62
	v_fma_f16 v146, 0x3a0c, v62, v108
	;; [unrolled: 2-line block ×4, first 2 shown]
	v_fmac_f16_e32 v61, 0xbbeb, v62
	v_add_f16_e32 v2, v2, v22
	v_add_f16_e32 v26, v26, v22
	;; [unrolled: 1-line block ×55, first 2 shown]
	v_add_f16_e64 v30, v128, v62
	v_add_f16_e64 v31, v129, v63
	v_add_f16_e32 v32, v90, v64
	v_add_f16_e32 v33, v91, v65
	v_add_f16_e64 v51, v130, v66
	v_add_f16_e64 v62, v131, v67
	v_add_f16_e32 v63, v92, v68
	v_add_f16_e32 v64, v93, v69
	v_add_f16_e64 v65, v132, v70
	v_add_f16_e32 v54, v54, v71
	v_add_f16_e32 v0, v50, v0
	;; [unrolled: 1-line block ×8, first 2 shown]
	v_add_f16_e64 v6, v133, v25
	v_add_f16_e64 v25, v137, v26
	v_add_f16_e32 v26, v95, v27
	v_add_f16_e32 v27, v99, v29
	v_add_f16_e64 v29, v134, v30
	v_add_f16_e64 v30, v138, v31
	v_add_f16_e32 v31, v96, v32
	v_add_f16_e32 v32, v100, v33
	;; [unrolled: 4-line block ×4, first 2 shown]
	v_add_f16_e32 v22, v22, v80
	v_add_f16_e32 v1, v1, v24
	;; [unrolled: 1-line block ×6, first 2 shown]
	v_add_f16_e64 v6, v141, v6
	v_add_f16_e64 v7, v145, v25
	v_add_f16_e32 v25, v103, v26
	v_add_f16_e32 v26, v107, v27
	v_add_f16_e64 v27, v142, v29
	v_add_f16_e64 v29, v146, v30
	v_add_f16_e32 v30, v104, v31
	v_add_f16_e32 v31, v108, v32
	v_add_f16_e64 v32, v143, v33
	v_add_f16_e64 v33, v147, v50
	v_add_f16_e32 v50, v105, v51
	v_add_f16_e32 v51, v109, v52
	v_add_f16_e64 v52, v144, v53
	v_add_f16_e64 v53, v148, v54
	v_add_f16_e32 v0, v59, v0
	v_add_f16_e32 v28, v61, v28
	v_add_f16_e32 v22, v22, v81
	v_add_f16_e32 v1, v1, v23
	;; [unrolled: 1-line block ×4, first 2 shown]
	v_pack_b32_f16 v2, v2, v3
	v_pack_b32_f16 v3, v6, v7
	;; [unrolled: 1-line block ×11, first 2 shown]
	ds_store_2addr_b32 v34, v3, v6 offset0:168 offset1:252
	ds_store_2addr_b32 v38, v7, v24 offset0:80 offset1:164
	;; [unrolled: 1-line block ×4, first 2 shown]
	ds_store_2addr_b32 v34, v1, v2 offset1:84
	ds_store_b32 v34, v4 offset:3360
	s_and_saveexec_b32 s1, s0
	s_cbranch_execz .LBB0_29
; %bb.28:
	v_subrev_nc_u32_e32 v0, 40, v8
	v_dual_mov_b32 v1, 0 :: v_dual_add_nc_u32 v24, 0x200, v34
	v_add_nc_u32_e32 v25, 0x400, v34
	v_add_nc_u32_e32 v26, 0x800, v34
	s_delay_alu instid0(VALU_DEP_4) | instskip(SKIP_1) | instid1(VALU_DEP_2)
	v_cndmask_b32_e64 v0, v0, v36, s0
	v_add_nc_u32_e32 v27, 0xa00, v34
	v_mul_i32_i24_e32 v0, 10, v0
	s_delay_alu instid0(VALU_DEP_1) | instskip(NEXT) | instid1(VALU_DEP_1)
	v_lshlrev_b64_e32 v[0:1], 2, v[0:1]
	v_add_co_u32 v22, s0, s4, v0
	s_wait_alu 0xf1ff
	s_delay_alu instid0(VALU_DEP_2)
	v_add_co_ci_u32_e64 v23, s0, s5, v1, s0
	s_clause 0x2
	global_load_b128 v[0:3], v[22:23], off offset:328
	global_load_b128 v[4:7], v[22:23], off offset:344
	global_load_b64 v[22:23], v[22:23], off offset:360
	s_wait_loadcnt 0x2
	v_lshrrev_b32_e32 v28, 16, v0
	v_lshrrev_b32_e32 v29, 16, v1
	s_wait_loadcnt 0x0
	v_lshrrev_b32_e32 v36, 16, v23
	v_lshrrev_b32_e32 v30, 16, v2
	;; [unrolled: 1-line block ×3, first 2 shown]
	v_mul_f16_e32 v50, v44, v28
	v_mul_f16_e32 v28, v13, v28
	;; [unrolled: 1-line block ×4, first 2 shown]
	v_lshrrev_b32_e32 v31, 16, v3
	v_lshrrev_b32_e32 v32, 16, v4
	;; [unrolled: 1-line block ×3, first 2 shown]
	v_mul_f16_e32 v52, v45, v29
	v_mul_f16_e32 v53, v48, v49
	v_mul_f16_e32 v29, v14, v29
	v_mul_f16_e32 v54, v40, v30
	v_mul_f16_e32 v30, v15, v30
	v_fmac_f16_e32 v50, v13, v0
	v_fmac_f16_e32 v51, v9, v23
	v_fma_f16 v9, v35, v23, -v36
	v_fma_f16 v0, v44, v0, -v28
	v_lshrrev_b32_e32 v33, 16, v5
	v_lshrrev_b32_e32 v38, 16, v7
	v_mul_f16_e32 v49, v21, v49
	v_mul_f16_e32 v56, v42, v31
	;; [unrolled: 1-line block ×6, first 2 shown]
	v_fmac_f16_e32 v52, v14, v1
	v_fmac_f16_e32 v53, v21, v22
	v_fma_f16 v1, v45, v1, -v29
	v_fmac_f16_e32 v54, v15, v2
	v_fma_f16 v2, v40, v2, -v30
	v_sub_f16_e32 v14, v50, v51
	v_add_f16_e32 v15, v0, v9
	v_sub_f16_e32 v29, v0, v9
	v_add_f16_e32 v40, v12, v50
	v_add_f16_e32 v0, v39, v0
	v_mul_f16_e32 v55, v47, v38
	v_mul_f16_e32 v38, v20, v38
	;; [unrolled: 1-line block ×5, first 2 shown]
	v_fma_f16 v13, v48, v22, -v49
	v_fmac_f16_e32 v56, v16, v3
	v_fmac_f16_e32 v57, v19, v6
	v_fma_f16 v6, v46, v6, -v37
	v_fmac_f16_e32 v58, v17, v4
	v_fma_f16 v4, v41, v4, -v32
	v_sub_f16_e32 v16, v52, v53
	v_add_f16_e32 v28, v50, v51
	v_mul_f16_e32 v41, 0xb853, v14
	v_mul_f16_e32 v46, 0xb853, v29
	;; [unrolled: 1-line block ×10, first 2 shown]
	v_add_f16_e32 v40, v40, v52
	v_add_f16_e32 v0, v0, v1
	v_fmac_f16_e32 v55, v20, v7
	v_fma_f16 v7, v47, v7, -v38
	v_fma_f16 v3, v42, v3, -v31
	v_fmac_f16_e32 v59, v18, v5
	v_fma_f16 v5, v43, v5, -v33
	v_add_f16_e32 v17, v1, v13
	v_sub_f16_e32 v31, v1, v13
	v_mul_f16_e32 v42, 0xbb47, v16
	v_mul_f16_e32 v61, 0xba0c, v16
	v_mul_f16_e32 v71, 0x3482, v16
	v_mul_f16_e32 v81, 0x3beb, v16
	v_mul_f16_e32 v16, 0x3853, v16
	v_fmamk_f16 v1, v15, 0x3abb, v41
	v_fma_f16 v93, v28, 0x3abb, -v46
	v_fmamk_f16 v98, v15, 0x36a6, v60
	v_fma_f16 v103, v28, 0x36a6, -v65
	;; [unrolled: 2-line block ×4, first 2 shown]
	v_fma_f16 v128, 0xbbad, v15, v14
	v_fma_f16 v133, v28, 0xbbad, -v29
	v_fma_f16 v14, v15, 0xbbad, -v14
	v_fmac_f16_e32 v29, 0xbbad, v28
	v_fma_f16 v80, v15, 0xb93d, -v80
	v_fmac_f16_e32 v85, 0xb93d, v28
	;; [unrolled: 2-line block ×5, first 2 shown]
	v_add_f16_e32 v28, v40, v54
	v_add_f16_e32 v0, v0, v2
	v_sub_f16_e32 v18, v54, v55
	v_sub_f16_e32 v20, v56, v57
	;; [unrolled: 1-line block ×6, first 2 shown]
	v_add_f16_e32 v30, v52, v53
	v_fmamk_f16 v52, v17, 0x36a6, v42
	v_fmamk_f16 v99, v17, 0xb93d, v61
	;; [unrolled: 1-line block ×4, first 2 shown]
	v_fma_f16 v129, 0x3abb, v17, v16
	v_fma_f16 v16, v17, 0x3abb, -v16
	v_fma_f16 v81, v17, 0xb08e, -v81
	;; [unrolled: 1-line block ×5, first 2 shown]
	v_add_f16_e32 v15, v39, v15
	v_add_f16_e32 v28, v28, v56
	;; [unrolled: 1-line block ×9, first 2 shown]
	v_mul_f16_e32 v43, 0xbbeb, v18
	v_mul_f16_e32 v44, 0xba0c, v20
	;; [unrolled: 1-line block ×35, first 2 shown]
	v_add_f16_e32 v15, v17, v15
	v_add_f16_e32 v17, v28, v58
	;; [unrolled: 1-line block ×3, first 2 shown]
	v_fmamk_f16 v90, v19, 0xb08e, v43
	v_fmamk_f16 v91, v21, 0xb93d, v44
	v_fmamk_f16 v92, v23, 0xbbad, v45
	v_fma_f16 v94, v30, 0x36a6, -v47
	v_fma_f16 v95, v32, 0xb08e, -v48
	v_fma_f16 v96, v35, 0xb93d, -v49
	v_fma_f16 v97, v37, 0xbbad, -v50
	v_fmamk_f16 v100, v19, 0xbbad, v62
	v_fmamk_f16 v101, v21, 0xb08e, v63
	v_fmamk_f16 v102, v23, 0x3abb, v64
	v_fma_f16 v104, v30, 0xb93d, -v66
	v_fma_f16 v105, v32, 0xbbad, -v67
	v_fma_f16 v106, v35, 0xb08e, -v68
	v_fma_f16 v107, v37, 0x3abb, -v69
	;; [unrolled: 7-line block ×4, first 2 shown]
	v_fma_f16 v130, 0xb93d, v19, v18
	v_fma_f16 v131, 0x36a6, v21, v20
	;; [unrolled: 1-line block ×3, first 2 shown]
	v_fma_f16 v134, v30, 0x3abb, -v31
	v_fma_f16 v135, v32, 0xb93d, -v33
	;; [unrolled: 1-line block ×7, first 2 shown]
	v_fmac_f16_e32 v31, 0x3abb, v30
	v_fmac_f16_e32 v33, 0xb93d, v32
	v_fmac_f16_e32 v36, 0x36a6, v35
	v_fmac_f16_e32 v38, 0xb08e, v37
	v_fma_f16 v82, v19, 0x3abb, -v82
	v_fma_f16 v83, v21, 0xbbad, -v83
	v_fma_f16 v84, v23, 0x36a6, -v84
	v_fmac_f16_e32 v86, 0xb08e, v30
	v_fmac_f16_e32 v87, 0x3abb, v32
	v_fmac_f16_e32 v88, 0xbbad, v35
	v_fmac_f16_e32 v89, 0x36a6, v37
	v_fma_f16 v72, v19, 0x36a6, -v72
	v_fma_f16 v73, v21, 0x3abb, -v73
	v_fma_f16 v74, v23, 0xb93d, -v74
	;; [unrolled: 7-line block ×4, first 2 shown]
	v_fmac_f16_e32 v47, 0x36a6, v30
	v_fmac_f16_e32 v48, 0xb08e, v32
	;; [unrolled: 1-line block ×4, first 2 shown]
	v_add_f16_e32 v2, v12, v93
	v_add_f16_e32 v30, v39, v98
	v_add_f16_e32 v32, v12, v103
	v_add_f16_e32 v35, v39, v108
	v_add_f16_e32 v37, v12, v113
	v_add_f16_e32 v40, v39, v118
	v_add_f16_e32 v41, v12, v123
	v_add_f16_e64 v42, v39, v128
	v_add_f16_e64 v43, v12, v133
	v_add_f16_e32 v14, v39, v14
	v_add_f16_e32 v29, v12, v29
	v_add_f16_e32 v44, v39, v80
	v_add_f16_e32 v45, v12, v85
	v_add_f16_e32 v54, v39, v70
	v_add_f16_e32 v70, v12, v75
	v_add_f16_e32 v60, v39, v60
	v_add_f16_e32 v65, v12, v65
	v_add_f16_e32 v12, v12, v46
	v_add_f16_e32 v17, v17, v59
	v_add_f16_e32 v0, v0, v5
	v_add_f16_e32 v1, v39, v1
	v_add_f16_e32 v3, v99, v30
	v_add_f16_e32 v30, v104, v32
	v_add_f16_e32 v32, v109, v35
	v_add_f16_e32 v35, v114, v37
	v_add_f16_e32 v37, v119, v40
	v_add_f16_e32 v39, v124, v41
	v_add_f16_e64 v40, v129, v42
	v_add_f16_e64 v41, v134, v43
	v_add_f16_e32 v14, v16, v14
	v_add_f16_e32 v16, v31, v29
	v_add_f16_e32 v29, v81, v44
	v_add_f16_e32 v31, v86, v45
	v_add_f16_e32 v42, v71, v54
	v_add_f16_e32 v43, v76, v70
	v_add_f16_e32 v44, v61, v60
	v_add_f16_e32 v45, v66, v65
	v_add_f16_e32 v12, v47, v12
	v_add_f16_e32 v17, v17, v57
	v_add_f16_e32 v0, v0, v6
	;; [unrolled: 20-line block ×3, first 2 shown]
	v_add_f16_e32 v17, v17, v55
	v_add_f16_e32 v0, v0, v7
	;; [unrolled: 1-line block ×18, first 2 shown]
	v_add_f16_e64 v32, v131, v37
	v_add_f16_e64 v35, v136, v39
	v_add_f16_e32 v3, v101, v3
	v_add_f16_e32 v4, v106, v4
	;; [unrolled: 1-line block ×19, first 2 shown]
	v_add_f16_e64 v28, v132, v32
	v_add_f16_e64 v30, v137, v35
	v_add_f16_e32 v3, v102, v3
	v_add_f16_e32 v4, v107, v4
	;; [unrolled: 1-line block ×7, first 2 shown]
	v_pack_b32_f16 v12, v12, v29
	v_pack_b32_f16 v13, v23, v22
	;; [unrolled: 1-line block ×11, first 2 shown]
	ds_store_2addr_b32 v24, v12, v13 offset0:84 offset1:168
	ds_store_2addr_b32 v25, v15, v14 offset0:124 offset1:208
	;; [unrolled: 1-line block ×5, first 2 shown]
	ds_store_b32 v34, v1 offset:3536
.LBB0_29:
	s_wait_alu 0xfffe
	s_or_b32 exec_lo, exec_lo, s1
	global_wb scope:SCOPE_SE
	s_wait_dscnt 0x0
	s_barrier_signal -1
	s_barrier_wait -1
	global_inv scope:SCOPE_SE
	s_and_saveexec_b32 s0, vcc_lo
	s_cbranch_execz .LBB0_31
; %bb.30:
	v_dual_mov_b32 v9, 0 :: v_dual_add_nc_u32 v0, 44, v8
	v_add_co_u32 v31, vcc_lo, s8, v10
	s_wait_alu 0xfffd
	v_add_co_ci_u32_e32 v32, vcc_lo, s9, v11, vcc_lo
	s_delay_alu instid0(VALU_DEP_3) | instskip(SKIP_2) | instid1(VALU_DEP_3)
	v_dual_mov_b32 v1, v9 :: v_dual_add_nc_u32 v6, 0x58, v8
	v_lshlrev_b64_e32 v[2:3], 2, v[8:9]
	v_dual_mov_b32 v7, v9 :: v_dual_add_nc_u32 v10, 0x84, v8
	v_lshlrev_b64_e32 v[0:1], 2, v[0:1]
	v_lshl_add_u32 v30, v8, 2, 0
	v_dual_mov_b32 v11, v9 :: v_dual_add_nc_u32 v14, 0xb0, v8
	v_add_co_u32 v2, vcc_lo, v31, v2
	v_lshlrev_b64_e32 v[6:7], 2, v[6:7]
	v_dual_mov_b32 v15, v9 :: v_dual_add_nc_u32 v18, 0xdc, v8
	s_wait_alu 0xfffd
	v_add_co_ci_u32_e32 v3, vcc_lo, v32, v3, vcc_lo
	ds_load_2addr_b32 v[4:5], v30 offset1:44
	v_add_co_u32 v0, vcc_lo, v31, v0
	v_lshlrev_b64_e32 v[10:11], 2, v[10:11]
	v_dual_mov_b32 v19, v9 :: v_dual_add_nc_u32 v20, 0x108, v8
	v_add_nc_u32_e32 v33, 0x400, v30
	s_wait_alu 0xfffd
	v_add_co_ci_u32_e32 v1, vcc_lo, v32, v1, vcc_lo
	ds_load_2addr_b32 v[12:13], v30 offset0:88 offset1:132
	v_add_co_u32 v6, vcc_lo, v31, v6
	v_lshlrev_b64_e32 v[14:15], 2, v[14:15]
	ds_load_2addr_b32 v[16:17], v30 offset0:176 offset1:220
	v_dual_mov_b32 v21, v9 :: v_dual_add_nc_u32 v22, 0x134, v8
	s_wait_alu 0xfffd
	v_add_co_ci_u32_e32 v7, vcc_lo, v32, v7, vcc_lo
	v_add_co_u32 v10, vcc_lo, v31, v10
	v_lshlrev_b64_e32 v[18:19], 2, v[18:19]
	ds_load_2addr_b32 v[24:25], v33 offset0:8 offset1:52
	v_dual_mov_b32 v23, v9 :: v_dual_add_nc_u32 v26, 0x160, v8
	s_wait_alu 0xfffd
	v_add_co_ci_u32_e32 v11, vcc_lo, v32, v11, vcc_lo
	v_add_co_u32 v14, vcc_lo, v31, v14
	v_lshlrev_b64_e32 v[20:21], 2, v[20:21]
	s_wait_alu 0xfffd
	v_add_co_ci_u32_e32 v15, vcc_lo, v32, v15, vcc_lo
	v_add_co_u32 v18, vcc_lo, v31, v18
	v_lshlrev_b64_e32 v[22:23], 2, v[22:23]
	s_wait_alu 0xfffd
	v_add_co_ci_u32_e32 v19, vcc_lo, v32, v19, vcc_lo
	v_add_co_u32 v20, vcc_lo, v31, v20
	v_dual_mov_b32 v27, v9 :: v_dual_add_nc_u32 v28, 0x18c, v8
	s_wait_alu 0xfffd
	v_add_co_ci_u32_e32 v21, vcc_lo, v32, v21, vcc_lo
	v_add_co_u32 v22, vcc_lo, v31, v22
	v_mov_b32_e32 v29, v9
	s_wait_alu 0xfffd
	v_add_co_ci_u32_e32 v23, vcc_lo, v32, v23, vcc_lo
	s_wait_dscnt 0x3
	s_clause 0x1
	global_store_b32 v[2:3], v4, off
	global_store_b32 v[0:1], v5, off
	s_wait_dscnt 0x2
	s_clause 0x1
	global_store_b32 v[6:7], v12, off
	global_store_b32 v[10:11], v13, off
	;; [unrolled: 4-line block ×4, first 2 shown]
	v_add_nc_u32_e32 v6, 0x1b8, v8
	v_lshlrev_b64_e32 v[0:1], 2, v[26:27]
	v_dual_mov_b32 v7, v9 :: v_dual_add_nc_u32 v10, 0x1e4, v8
	v_lshlrev_b64_e32 v[4:5], 2, v[28:29]
	v_dual_mov_b32 v11, v9 :: v_dual_add_nc_u32 v14, 0x210, v8
	s_delay_alu instid0(VALU_DEP_4) | instskip(NEXT) | instid1(VALU_DEP_4)
	v_add_co_u32 v0, vcc_lo, v31, v0
	v_lshlrev_b64_e32 v[6:7], 2, v[6:7]
	v_dual_mov_b32 v15, v9 :: v_dual_add_nc_u32 v28, 0x800, v30
	s_wait_alu 0xfffd
	v_add_co_ci_u32_e32 v1, vcc_lo, v32, v1, vcc_lo
	ds_load_2addr_b32 v[2:3], v33 offset0:96 offset1:140
	v_add_co_u32 v4, vcc_lo, v31, v4
	v_lshlrev_b64_e32 v[10:11], 2, v[10:11]
	v_dual_mov_b32 v19, v9 :: v_dual_add_nc_u32 v18, 0x23c, v8
	s_wait_alu 0xfffd
	v_add_co_ci_u32_e32 v5, vcc_lo, v32, v5, vcc_lo
	ds_load_2addr_b32 v[12:13], v33 offset0:184 offset1:228
	v_add_co_u32 v6, vcc_lo, v31, v6
	v_lshlrev_b64_e32 v[14:15], 2, v[14:15]
	ds_load_2addr_b32 v[16:17], v28 offset0:16 offset1:60
	v_dual_mov_b32 v21, v9 :: v_dual_add_nc_u32 v20, 0x268, v8
	s_wait_alu 0xfffd
	v_add_co_ci_u32_e32 v7, vcc_lo, v32, v7, vcc_lo
	v_add_co_u32 v10, vcc_lo, v31, v10
	v_lshlrev_b64_e32 v[18:19], 2, v[18:19]
	ds_load_2addr_b32 v[22:23], v28 offset0:104 offset1:148
	v_dual_mov_b32 v25, v9 :: v_dual_add_nc_u32 v24, 0x294, v8
	s_wait_alu 0xfffd
	v_add_co_ci_u32_e32 v11, vcc_lo, v32, v11, vcc_lo
	v_add_co_u32 v14, vcc_lo, v31, v14
	v_lshlrev_b64_e32 v[20:21], 2, v[20:21]
	s_wait_alu 0xfffd
	v_add_co_ci_u32_e32 v15, vcc_lo, v32, v15, vcc_lo
	v_add_co_u32 v18, vcc_lo, v31, v18
	v_lshlrev_b64_e32 v[24:25], 2, v[24:25]
	s_wait_alu 0xfffd
	v_add_co_ci_u32_e32 v19, vcc_lo, v32, v19, vcc_lo
	v_add_co_u32 v20, vcc_lo, v31, v20
	s_wait_alu 0xfffd
	v_add_co_ci_u32_e32 v21, vcc_lo, v32, v21, vcc_lo
	v_add_nc_u32_e32 v26, 0x2c0, v8
	v_add_co_u32 v24, vcc_lo, v31, v24
	s_wait_alu 0xfffd
	v_add_co_ci_u32_e32 v25, vcc_lo, v32, v25, vcc_lo
	s_wait_dscnt 0x3
	s_clause 0x1
	global_store_b32 v[0:1], v2, off
	global_store_b32 v[4:5], v3, off
	s_wait_dscnt 0x2
	s_clause 0x1
	global_store_b32 v[6:7], v12, off
	global_store_b32 v[10:11], v13, off
	;; [unrolled: 4-line block ×4, first 2 shown]
	v_dual_mov_b32 v5, v9 :: v_dual_add_nc_u32 v4, 0x2ec, v8
	v_dual_mov_b32 v7, v9 :: v_dual_add_nc_u32 v10, 0xc00, v30
	v_lshlrev_b64_e32 v[2:3], 2, v[26:27]
	ds_load_2addr_b32 v[0:1], v28 offset0:192 offset1:236
	v_dual_mov_b32 v13, v9 :: v_dual_add_nc_u32 v6, 0x318, v8
	v_lshlrev_b64_e32 v[4:5], 2, v[4:5]
	ds_load_2addr_b32 v[10:11], v10 offset0:24 offset1:68
	v_add_nc_u32_e32 v12, 0x344, v8
	ds_load_b32 v14, v30 offset:3520
	v_add_co_u32 v2, vcc_lo, v31, v2
	v_lshlrev_b64_e32 v[6:7], 2, v[6:7]
	v_add_nc_u32_e32 v8, 0x370, v8
	s_wait_alu 0xfffd
	v_add_co_ci_u32_e32 v3, vcc_lo, v32, v3, vcc_lo
	v_add_co_u32 v4, vcc_lo, v31, v4
	v_lshlrev_b64_e32 v[12:13], 2, v[12:13]
	s_wait_alu 0xfffd
	v_add_co_ci_u32_e32 v5, vcc_lo, v32, v5, vcc_lo
	v_add_co_u32 v6, vcc_lo, v31, v6
	v_lshlrev_b64_e32 v[8:9], 2, v[8:9]
	s_wait_alu 0xfffd
	v_add_co_ci_u32_e32 v7, vcc_lo, v32, v7, vcc_lo
	v_add_co_u32 v12, vcc_lo, v31, v12
	s_wait_alu 0xfffd
	v_add_co_ci_u32_e32 v13, vcc_lo, v32, v13, vcc_lo
	v_add_co_u32 v8, vcc_lo, v31, v8
	s_wait_alu 0xfffd
	v_add_co_ci_u32_e32 v9, vcc_lo, v32, v9, vcc_lo
	s_wait_dscnt 0x2
	s_clause 0x1
	global_store_b32 v[2:3], v0, off
	global_store_b32 v[4:5], v1, off
	s_wait_dscnt 0x1
	s_clause 0x1
	global_store_b32 v[6:7], v10, off
	global_store_b32 v[12:13], v11, off
	s_wait_dscnt 0x0
	global_store_b32 v[8:9], v14, off
.LBB0_31:
	s_nop 0
	s_sendmsg sendmsg(MSG_DEALLOC_VGPRS)
	s_endpgm
	.section	.rodata,"a",@progbits
	.p2align	6, 0x0
	.amdhsa_kernel fft_rtc_back_len924_factors_2_2_3_7_11_wgs_44_tpt_44_halfLds_half_ip_CI_unitstride_sbrr_C2R_dirReg
		.amdhsa_group_segment_fixed_size 0
		.amdhsa_private_segment_fixed_size 0
		.amdhsa_kernarg_size 88
		.amdhsa_user_sgpr_count 2
		.amdhsa_user_sgpr_dispatch_ptr 0
		.amdhsa_user_sgpr_queue_ptr 0
		.amdhsa_user_sgpr_kernarg_segment_ptr 1
		.amdhsa_user_sgpr_dispatch_id 0
		.amdhsa_user_sgpr_private_segment_size 0
		.amdhsa_wavefront_size32 1
		.amdhsa_uses_dynamic_stack 0
		.amdhsa_enable_private_segment 0
		.amdhsa_system_sgpr_workgroup_id_x 1
		.amdhsa_system_sgpr_workgroup_id_y 0
		.amdhsa_system_sgpr_workgroup_id_z 0
		.amdhsa_system_sgpr_workgroup_info 0
		.amdhsa_system_vgpr_workitem_id 0
		.amdhsa_next_free_vgpr 149
		.amdhsa_next_free_sgpr 32
		.amdhsa_reserve_vcc 1
		.amdhsa_float_round_mode_32 0
		.amdhsa_float_round_mode_16_64 0
		.amdhsa_float_denorm_mode_32 3
		.amdhsa_float_denorm_mode_16_64 3
		.amdhsa_fp16_overflow 0
		.amdhsa_workgroup_processor_mode 1
		.amdhsa_memory_ordered 1
		.amdhsa_forward_progress 0
		.amdhsa_round_robin_scheduling 0
		.amdhsa_exception_fp_ieee_invalid_op 0
		.amdhsa_exception_fp_denorm_src 0
		.amdhsa_exception_fp_ieee_div_zero 0
		.amdhsa_exception_fp_ieee_overflow 0
		.amdhsa_exception_fp_ieee_underflow 0
		.amdhsa_exception_fp_ieee_inexact 0
		.amdhsa_exception_int_div_zero 0
	.end_amdhsa_kernel
	.text
.Lfunc_end0:
	.size	fft_rtc_back_len924_factors_2_2_3_7_11_wgs_44_tpt_44_halfLds_half_ip_CI_unitstride_sbrr_C2R_dirReg, .Lfunc_end0-fft_rtc_back_len924_factors_2_2_3_7_11_wgs_44_tpt_44_halfLds_half_ip_CI_unitstride_sbrr_C2R_dirReg
                                        ; -- End function
	.section	.AMDGPU.csdata,"",@progbits
; Kernel info:
; codeLenInByte = 16568
; NumSgprs: 34
; NumVgprs: 149
; ScratchSize: 0
; MemoryBound: 0
; FloatMode: 240
; IeeeMode: 1
; LDSByteSize: 0 bytes/workgroup (compile time only)
; SGPRBlocks: 4
; VGPRBlocks: 18
; NumSGPRsForWavesPerEU: 34
; NumVGPRsForWavesPerEU: 149
; Occupancy: 9
; WaveLimiterHint : 1
; COMPUTE_PGM_RSRC2:SCRATCH_EN: 0
; COMPUTE_PGM_RSRC2:USER_SGPR: 2
; COMPUTE_PGM_RSRC2:TRAP_HANDLER: 0
; COMPUTE_PGM_RSRC2:TGID_X_EN: 1
; COMPUTE_PGM_RSRC2:TGID_Y_EN: 0
; COMPUTE_PGM_RSRC2:TGID_Z_EN: 0
; COMPUTE_PGM_RSRC2:TIDIG_COMP_CNT: 0
	.text
	.p2alignl 7, 3214868480
	.fill 96, 4, 3214868480
	.type	__hip_cuid_2b007a8f355b249e,@object ; @__hip_cuid_2b007a8f355b249e
	.section	.bss,"aw",@nobits
	.globl	__hip_cuid_2b007a8f355b249e
__hip_cuid_2b007a8f355b249e:
	.byte	0                               ; 0x0
	.size	__hip_cuid_2b007a8f355b249e, 1

	.ident	"AMD clang version 19.0.0git (https://github.com/RadeonOpenCompute/llvm-project roc-6.4.0 25133 c7fe45cf4b819c5991fe208aaa96edf142730f1d)"
	.section	".note.GNU-stack","",@progbits
	.addrsig
	.addrsig_sym __hip_cuid_2b007a8f355b249e
	.amdgpu_metadata
---
amdhsa.kernels:
  - .args:
      - .actual_access:  read_only
        .address_space:  global
        .offset:         0
        .size:           8
        .value_kind:     global_buffer
      - .offset:         8
        .size:           8
        .value_kind:     by_value
      - .actual_access:  read_only
        .address_space:  global
        .offset:         16
        .size:           8
        .value_kind:     global_buffer
      - .actual_access:  read_only
        .address_space:  global
        .offset:         24
        .size:           8
        .value_kind:     global_buffer
      - .offset:         32
        .size:           8
        .value_kind:     by_value
      - .actual_access:  read_only
        .address_space:  global
        .offset:         40
        .size:           8
        .value_kind:     global_buffer
      - .actual_access:  read_only
        .address_space:  global
        .offset:         48
        .size:           8
        .value_kind:     global_buffer
      - .offset:         56
        .size:           4
        .value_kind:     by_value
      - .actual_access:  read_only
        .address_space:  global
        .offset:         64
        .size:           8
        .value_kind:     global_buffer
      - .actual_access:  read_only
        .address_space:  global
        .offset:         72
        .size:           8
        .value_kind:     global_buffer
      - .address_space:  global
        .offset:         80
        .size:           8
        .value_kind:     global_buffer
    .group_segment_fixed_size: 0
    .kernarg_segment_align: 8
    .kernarg_segment_size: 88
    .language:       OpenCL C
    .language_version:
      - 2
      - 0
    .max_flat_workgroup_size: 44
    .name:           fft_rtc_back_len924_factors_2_2_3_7_11_wgs_44_tpt_44_halfLds_half_ip_CI_unitstride_sbrr_C2R_dirReg
    .private_segment_fixed_size: 0
    .sgpr_count:     34
    .sgpr_spill_count: 0
    .symbol:         fft_rtc_back_len924_factors_2_2_3_7_11_wgs_44_tpt_44_halfLds_half_ip_CI_unitstride_sbrr_C2R_dirReg.kd
    .uniform_work_group_size: 1
    .uses_dynamic_stack: false
    .vgpr_count:     149
    .vgpr_spill_count: 0
    .wavefront_size: 32
    .workgroup_processor_mode: 1
amdhsa.target:   amdgcn-amd-amdhsa--gfx1201
amdhsa.version:
  - 1
  - 2
...

	.end_amdgpu_metadata
